;; amdgpu-corpus repo=ROCm/rocFFT kind=compiled arch=gfx950 opt=O3
	.text
	.amdgcn_target "amdgcn-amd-amdhsa--gfx950"
	.amdhsa_code_object_version 6
	.protected	fft_rtc_back_len2197_factors_13_13_13_wgs_169_tpt_169_halfLds_sp_op_CI_CI_sbrr_dirReg ; -- Begin function fft_rtc_back_len2197_factors_13_13_13_wgs_169_tpt_169_halfLds_sp_op_CI_CI_sbrr_dirReg
	.globl	fft_rtc_back_len2197_factors_13_13_13_wgs_169_tpt_169_halfLds_sp_op_CI_CI_sbrr_dirReg
	.p2align	8
	.type	fft_rtc_back_len2197_factors_13_13_13_wgs_169_tpt_169_halfLds_sp_op_CI_CI_sbrr_dirReg,@function
fft_rtc_back_len2197_factors_13_13_13_wgs_169_tpt_169_halfLds_sp_op_CI_CI_sbrr_dirReg: ; @fft_rtc_back_len2197_factors_13_13_13_wgs_169_tpt_169_halfLds_sp_op_CI_CI_sbrr_dirReg
; %bb.0:
	s_load_dwordx4 s[12:15], s[0:1], 0x18
	s_load_dwordx4 s[8:11], s[0:1], 0x0
	;; [unrolled: 1-line block ×3, first 2 shown]
	v_mul_u32_u24_e32 v1, 0x184, v0
	v_add_u32_sdwa v8, s2, v1 dst_sel:DWORD dst_unused:UNUSED_PAD src0_sel:DWORD src1_sel:WORD_1
	s_waitcnt lgkmcnt(0)
	s_load_dwordx2 s[18:19], s[12:13], 0x0
	s_load_dwordx2 s[16:17], s[14:15], 0x0
	v_mov_b32_e32 v6, 0
	v_cmp_lt_u64_e64 s[2:3], s[10:11], 2
	v_mov_b32_e32 v9, v6
	s_and_b64 vcc, exec, s[2:3]
	v_mov_b64_e32 v[18:19], 0
	s_cbranch_vccnz .LBB0_8
; %bb.1:
	s_load_dwordx2 s[2:3], s[0:1], 0x10
	s_add_u32 s20, s14, 8
	s_addc_u32 s21, s15, 0
	s_add_u32 s22, s12, 8
	s_addc_u32 s23, s13, 0
	s_waitcnt lgkmcnt(0)
	s_add_u32 s24, s2, 8
	v_mov_b64_e32 v[18:19], 0
	s_addc_u32 s25, s3, 0
	s_mov_b64 s[26:27], 1
	v_mov_b64_e32 v[2:3], v[18:19]
.LBB0_2:                                ; =>This Inner Loop Header: Depth=1
	s_load_dwordx2 s[28:29], s[24:25], 0x0
                                        ; implicit-def: $vgpr4_vgpr5
	s_waitcnt lgkmcnt(0)
	v_or_b32_e32 v7, s29, v9
	v_cmp_ne_u64_e32 vcc, 0, v[6:7]
	s_and_saveexec_b64 s[2:3], vcc
	s_xor_b64 s[30:31], exec, s[2:3]
	s_cbranch_execz .LBB0_4
; %bb.3:                                ;   in Loop: Header=BB0_2 Depth=1
	v_cvt_f32_u32_e32 v1, s28
	v_cvt_f32_u32_e32 v4, s29
	s_sub_u32 s2, 0, s28
	s_subb_u32 s3, 0, s29
	v_fmac_f32_e32 v1, 0x4f800000, v4
	v_rcp_f32_e32 v1, v1
	s_nop 0
	v_mul_f32_e32 v1, 0x5f7ffffc, v1
	v_mul_f32_e32 v4, 0x2f800000, v1
	v_trunc_f32_e32 v4, v4
	v_fmac_f32_e32 v1, 0xcf800000, v4
	v_cvt_u32_f32_e32 v7, v4
	v_cvt_u32_f32_e32 v1, v1
	v_mul_lo_u32 v4, s2, v7
	v_mul_hi_u32 v10, s2, v1
	v_mul_lo_u32 v5, s3, v1
	v_add_u32_e32 v10, v10, v4
	v_mul_lo_u32 v12, s2, v1
	v_add_u32_e32 v13, v10, v5
	v_mul_hi_u32 v4, v1, v12
	v_mul_hi_u32 v11, v1, v13
	v_mul_lo_u32 v10, v1, v13
	v_mov_b32_e32 v5, v6
	v_lshl_add_u64 v[4:5], v[4:5], 0, v[10:11]
	v_mul_hi_u32 v11, v7, v12
	v_mul_lo_u32 v12, v7, v12
	v_add_co_u32_e32 v4, vcc, v4, v12
	v_mul_hi_u32 v10, v7, v13
	s_nop 0
	v_addc_co_u32_e32 v4, vcc, v5, v11, vcc
	v_mov_b32_e32 v5, v6
	s_nop 0
	v_addc_co_u32_e32 v11, vcc, 0, v10, vcc
	v_mul_lo_u32 v10, v7, v13
	v_lshl_add_u64 v[4:5], v[4:5], 0, v[10:11]
	v_add_co_u32_e32 v1, vcc, v1, v4
	v_mul_lo_u32 v10, s2, v1
	s_nop 0
	v_addc_co_u32_e32 v7, vcc, v7, v5, vcc
	v_mul_lo_u32 v4, s2, v7
	v_mul_hi_u32 v5, s2, v1
	v_add_u32_e32 v4, v5, v4
	v_mul_lo_u32 v5, s3, v1
	v_add_u32_e32 v12, v4, v5
	v_mul_hi_u32 v14, v7, v10
	v_mul_lo_u32 v15, v7, v10
	v_mul_hi_u32 v5, v1, v12
	v_mul_lo_u32 v4, v1, v12
	v_mul_hi_u32 v10, v1, v10
	v_mov_b32_e32 v11, v6
	v_lshl_add_u64 v[4:5], v[10:11], 0, v[4:5]
	v_add_co_u32_e32 v4, vcc, v4, v15
	v_mul_hi_u32 v13, v7, v12
	s_nop 0
	v_addc_co_u32_e32 v4, vcc, v5, v14, vcc
	v_mul_lo_u32 v10, v7, v12
	s_nop 0
	v_addc_co_u32_e32 v11, vcc, 0, v13, vcc
	v_mov_b32_e32 v5, v6
	v_lshl_add_u64 v[4:5], v[4:5], 0, v[10:11]
	v_add_co_u32_e32 v1, vcc, v1, v4
	v_mul_hi_u32 v10, v8, v1
	s_nop 0
	v_addc_co_u32_e32 v7, vcc, v7, v5, vcc
	v_mad_u64_u32 v[4:5], s[2:3], v8, v7, 0
	v_mov_b32_e32 v11, v6
	v_lshl_add_u64 v[4:5], v[10:11], 0, v[4:5]
	v_mad_u64_u32 v[12:13], s[2:3], v9, v1, 0
	v_add_co_u32_e32 v1, vcc, v4, v12
	v_mad_u64_u32 v[10:11], s[2:3], v9, v7, 0
	s_nop 0
	v_addc_co_u32_e32 v4, vcc, v5, v13, vcc
	v_mov_b32_e32 v5, v6
	s_nop 0
	v_addc_co_u32_e32 v11, vcc, 0, v11, vcc
	v_lshl_add_u64 v[4:5], v[4:5], 0, v[10:11]
	v_mul_lo_u32 v1, s29, v4
	v_mul_lo_u32 v7, s28, v5
	v_mad_u64_u32 v[10:11], s[2:3], s28, v4, 0
	v_add3_u32 v1, v11, v7, v1
	v_sub_u32_e32 v7, v9, v1
	v_mov_b32_e32 v11, s29
	v_sub_co_u32_e32 v14, vcc, v8, v10
	v_lshl_add_u64 v[12:13], v[4:5], 0, 1
	s_nop 0
	v_subb_co_u32_e64 v7, s[2:3], v7, v11, vcc
	v_subrev_co_u32_e64 v10, s[2:3], s28, v14
	v_subb_co_u32_e32 v1, vcc, v9, v1, vcc
	s_nop 0
	v_subbrev_co_u32_e64 v7, s[2:3], 0, v7, s[2:3]
	v_cmp_le_u32_e64 s[2:3], s29, v7
	v_cmp_le_u32_e32 vcc, s29, v1
	s_nop 0
	v_cndmask_b32_e64 v11, 0, -1, s[2:3]
	v_cmp_le_u32_e64 s[2:3], s28, v10
	s_nop 1
	v_cndmask_b32_e64 v10, 0, -1, s[2:3]
	v_cmp_eq_u32_e64 s[2:3], s29, v7
	s_nop 1
	v_cndmask_b32_e64 v7, v11, v10, s[2:3]
	v_lshl_add_u64 v[10:11], v[4:5], 0, 2
	v_cmp_ne_u32_e64 s[2:3], 0, v7
	s_nop 1
	v_cndmask_b32_e64 v7, v13, v11, s[2:3]
	v_cndmask_b32_e64 v11, 0, -1, vcc
	v_cmp_le_u32_e32 vcc, s28, v14
	s_nop 1
	v_cndmask_b32_e64 v13, 0, -1, vcc
	v_cmp_eq_u32_e32 vcc, s29, v1
	s_nop 1
	v_cndmask_b32_e32 v1, v11, v13, vcc
	v_cmp_ne_u32_e32 vcc, 0, v1
	v_cndmask_b32_e64 v1, v12, v10, s[2:3]
	s_nop 0
	v_cndmask_b32_e32 v5, v5, v7, vcc
	v_cndmask_b32_e32 v4, v4, v1, vcc
.LBB0_4:                                ;   in Loop: Header=BB0_2 Depth=1
	s_andn2_saveexec_b64 s[2:3], s[30:31]
	s_cbranch_execz .LBB0_6
; %bb.5:                                ;   in Loop: Header=BB0_2 Depth=1
	v_cvt_f32_u32_e32 v1, s28
	s_sub_i32 s30, 0, s28
	v_rcp_iflag_f32_e32 v1, v1
	s_nop 0
	v_mul_f32_e32 v1, 0x4f7ffffe, v1
	v_cvt_u32_f32_e32 v1, v1
	v_mul_lo_u32 v4, s30, v1
	v_mul_hi_u32 v4, v1, v4
	v_add_u32_e32 v1, v1, v4
	v_mul_hi_u32 v1, v8, v1
	v_mul_lo_u32 v4, v1, s28
	v_sub_u32_e32 v4, v8, v4
	v_add_u32_e32 v5, 1, v1
	v_subrev_u32_e32 v7, s28, v4
	v_cmp_le_u32_e32 vcc, s28, v4
	s_nop 1
	v_cndmask_b32_e32 v4, v4, v7, vcc
	v_cndmask_b32_e32 v1, v1, v5, vcc
	v_add_u32_e32 v5, 1, v1
	v_cmp_le_u32_e32 vcc, s28, v4
	s_nop 1
	v_cndmask_b32_e32 v4, v1, v5, vcc
	v_mov_b32_e32 v5, v6
.LBB0_6:                                ;   in Loop: Header=BB0_2 Depth=1
	s_or_b64 exec, exec, s[2:3]
	v_mad_u64_u32 v[10:11], s[2:3], v4, s28, 0
	s_load_dwordx2 s[2:3], s[22:23], 0x0
	v_mul_lo_u32 v1, v5, s28
	v_mul_lo_u32 v7, v4, s29
	s_load_dwordx2 s[28:29], s[20:21], 0x0
	s_add_u32 s26, s26, 1
	v_add3_u32 v1, v11, v7, v1
	v_sub_co_u32_e32 v7, vcc, v8, v10
	s_addc_u32 s27, s27, 0
	s_nop 0
	v_subb_co_u32_e32 v1, vcc, v9, v1, vcc
	s_add_u32 s20, s20, 8
	s_waitcnt lgkmcnt(0)
	v_mul_lo_u32 v8, s2, v1
	v_mul_lo_u32 v9, s3, v7
	v_mad_u64_u32 v[18:19], s[2:3], s2, v7, v[18:19]
	s_addc_u32 s21, s21, 0
	v_add3_u32 v19, v9, v19, v8
	v_mul_lo_u32 v1, s28, v1
	v_mul_lo_u32 v8, s29, v7
	v_mad_u64_u32 v[2:3], s[2:3], s28, v7, v[2:3]
	s_add_u32 s22, s22, 8
	v_add3_u32 v3, v8, v3, v1
	s_addc_u32 s23, s23, 0
	v_mov_b64_e32 v[8:9], s[10:11]
	s_add_u32 s24, s24, 8
	v_cmp_ge_u64_e32 vcc, s[26:27], v[8:9]
	s_addc_u32 s25, s25, 0
	s_cbranch_vccnz .LBB0_9
; %bb.7:                                ;   in Loop: Header=BB0_2 Depth=1
	v_mov_b64_e32 v[8:9], v[4:5]
	s_branch .LBB0_2
.LBB0_8:
	v_mov_b64_e32 v[2:3], v[18:19]
	v_mov_b64_e32 v[4:5], v[8:9]
.LBB0_9:
	s_load_dwordx2 s[0:1], s[0:1], 0x28
	s_lshl_b64 s[2:3], s[10:11], 3
	s_add_u32 s40, s14, s2
	s_addc_u32 s41, s15, s3
                                        ; implicit-def: $sgpr10_sgpr11
                                        ; implicit-def: $sgpr14
                                        ; implicit-def: $vgpr67
	s_waitcnt lgkmcnt(0)
	v_cmp_gt_u64_e32 vcc, s[0:1], v[4:5]
	v_cmp_le_u64_e64 s[0:1], s[0:1], v[4:5]
	s_and_saveexec_b64 s[20:21], s[0:1]
	s_xor_b64 s[0:1], exec, s[20:21]
; %bb.10:
	s_mov_b32 s10, 0x183c978
	v_mul_hi_u32 v1, v0, s10
	v_mul_u32_u24_e32 v1, 0xa9, v1
	v_sub_u32_e32 v67, v0, v1
	s_mov_b32 s14, 0
	s_mov_b64 s[10:11], 0
                                        ; implicit-def: $vgpr0
                                        ; implicit-def: $vgpr18_vgpr19
; %bb.11:
	s_or_saveexec_b64 s[0:1], s[0:1]
	v_mov_b32_e32 v66, s14
	v_mov_b64_e32 v[6:7], s[10:11]
                                        ; implicit-def: $vgpr38
                                        ; implicit-def: $vgpr12
                                        ; implicit-def: $vgpr44
                                        ; implicit-def: $vgpr8
                                        ; implicit-def: $vgpr24
                                        ; implicit-def: $vgpr16
                                        ; implicit-def: $vgpr14
                                        ; implicit-def: $vgpr10
                                        ; implicit-def: $vgpr20
                                        ; implicit-def: $vgpr26
                                        ; implicit-def: $vgpr30
                                        ; implicit-def: $vgpr22
	s_xor_b64 exec, exec, s[0:1]
	s_cbranch_execz .LBB0_13
; %bb.12:
	s_add_u32 s2, s12, s2
	s_addc_u32 s3, s13, s3
	s_load_dwordx2 s[2:3], s[2:3], 0x0
	s_mov_b32 s10, 0x183c978
	s_waitcnt lgkmcnt(0)
	v_mul_lo_u32 v1, s3, v4
	v_mul_lo_u32 v8, s2, v5
	v_mad_u64_u32 v[6:7], s[2:3], s2, v4, 0
	v_add3_u32 v7, v7, v8, v1
	v_mul_hi_u32 v1, v0, s10
	v_mul_u32_u24_e32 v1, 0xa9, v1
	v_sub_u32_e32 v67, v0, v1
	v_mad_u64_u32 v[0:1], s[2:3], s18, v67, 0
	v_mov_b32_e32 v8, v1
	v_mad_u64_u32 v[8:9], s[2:3], s19, v67, v[8:9]
	v_lshl_add_u64 v[6:7], v[6:7], 3, s[4:5]
	v_add_u32_e32 v9, 0xa9, v67
	v_lshl_add_u64 v[14:15], v[18:19], 3, v[6:7]
	v_mad_u64_u32 v[6:7], s[2:3], s18, v9, 0
	v_mov_b32_e32 v1, v8
	v_mov_b32_e32 v8, v7
	v_mad_u64_u32 v[8:9], s[2:3], s19, v9, v[8:9]
	v_mov_b32_e32 v7, v8
	v_add_u32_e32 v9, 0x152, v67
	v_lshl_add_u64 v[10:11], v[6:7], 3, v[14:15]
	v_mad_u64_u32 v[6:7], s[2:3], s18, v9, 0
	v_mov_b32_e32 v8, v7
	v_mad_u64_u32 v[8:9], s[2:3], s19, v9, v[8:9]
	v_mov_b32_e32 v7, v8
	v_add_u32_e32 v9, 0x1fb, v67
	v_lshl_add_u64 v[12:13], v[6:7], 3, v[14:15]
	v_mad_u64_u32 v[6:7], s[2:3], s18, v9, 0
	v_mov_b32_e32 v8, v7
	v_mad_u64_u32 v[8:9], s[2:3], s19, v9, v[8:9]
	v_lshl_add_u64 v[0:1], v[0:1], 3, v[14:15]
	v_mov_b32_e32 v7, v8
	v_lshl_add_u64 v[16:17], v[6:7], 3, v[14:15]
	global_load_dwordx2 v[6:7], v[0:1], off
	global_load_dwordx2 v[18:19], v[10:11], off
	;; [unrolled: 1-line block ×4, first 2 shown]
	v_add_u32_e32 v11, 0x2a4, v67
	v_mad_u64_u32 v[0:1], s[2:3], s18, v11, 0
	v_mov_b32_e32 v10, v1
	v_mad_u64_u32 v[10:11], s[2:3], s19, v11, v[10:11]
	v_add_u32_e32 v13, 0x34d, v67
	v_mov_b32_e32 v1, v10
	v_mad_u64_u32 v[10:11], s[2:3], s18, v13, 0
	v_mov_b32_e32 v12, v11
	v_mad_u64_u32 v[12:13], s[2:3], s19, v13, v[12:13]
	v_add_u32_e32 v17, 0x3f6, v67
	v_mov_b32_e32 v11, v12
	v_mad_u64_u32 v[12:13], s[2:3], s18, v17, 0
	v_mov_b32_e32 v16, v13
	v_mad_u64_u32 v[16:17], s[2:3], s19, v17, v[16:17]
	v_mov_b32_e32 v13, v16
	v_add_u32_e32 v17, 0x49f, v67
	v_lshl_add_u64 v[20:21], v[12:13], 3, v[14:15]
	v_mad_u64_u32 v[12:13], s[2:3], s18, v17, 0
	v_mov_b32_e32 v16, v13
	v_mad_u64_u32 v[16:17], s[2:3], s19, v17, v[16:17]
	v_lshl_add_u64 v[0:1], v[0:1], 3, v[14:15]
	v_lshl_add_u64 v[10:11], v[10:11], 3, v[14:15]
	v_mov_b32_e32 v13, v16
	v_lshl_add_u64 v[26:27], v[12:13], 3, v[14:15]
	global_load_dwordx2 v[12:13], v[0:1], off
	global_load_dwordx2 v[24:25], v[10:11], off
	;; [unrolled: 1-line block ×4, first 2 shown]
	v_add_u32_e32 v11, 0x548, v67
	v_mad_u64_u32 v[0:1], s[2:3], s18, v11, 0
	v_mov_b32_e32 v10, v1
	v_mad_u64_u32 v[10:11], s[2:3], s19, v11, v[10:11]
	v_add_u32_e32 v21, 0x5f1, v67
	v_mov_b32_e32 v1, v10
	v_mad_u64_u32 v[10:11], s[2:3], s18, v21, 0
	v_mov_b32_e32 v20, v11
	v_mad_u64_u32 v[20:21], s[2:3], s19, v21, v[20:21]
	v_mov_b32_e32 v11, v20
	v_add_u32_e32 v21, 0x69a, v67
	v_lshl_add_u64 v[28:29], v[10:11], 3, v[14:15]
	v_mad_u64_u32 v[10:11], s[2:3], s18, v21, 0
	v_mov_b32_e32 v20, v11
	v_mad_u64_u32 v[20:21], s[2:3], s19, v21, v[20:21]
	v_mov_b32_e32 v11, v20
	v_add_u32_e32 v21, 0x743, v67
	v_lshl_add_u64 v[32:33], v[10:11], 3, v[14:15]
	v_mad_u64_u32 v[10:11], s[2:3], s18, v21, 0
	v_mov_b32_e32 v20, v11
	v_mad_u64_u32 v[20:21], s[2:3], s19, v21, v[20:21]
	v_lshl_add_u64 v[0:1], v[0:1], 3, v[14:15]
	v_mov_b32_e32 v11, v20
	v_lshl_add_u64 v[34:35], v[10:11], 3, v[14:15]
	global_load_dwordx2 v[30:31], v[0:1], off
	global_load_dwordx2 v[26:27], v[28:29], off
	;; [unrolled: 1-line block ×4, first 2 shown]
	v_add_u32_e32 v29, 0x7ec, v67
	v_mad_u64_u32 v[0:1], s[2:3], s18, v29, 0
	v_mov_b32_e32 v28, v1
	v_mad_u64_u32 v[28:29], s[2:3], s19, v29, v[28:29]
	v_mov_b32_e32 v1, v28
	v_lshl_add_u64 v[0:1], v[0:1], 3, v[14:15]
	global_load_dwordx2 v[14:15], v[0:1], off
	v_mov_b32_e32 v66, v67
	s_waitcnt vmcnt(11)
	v_mov_b32_e32 v39, v19
	s_waitcnt vmcnt(8)
	v_mov_b32_e32 v38, v13
	v_mov_b32_e32 v13, v18
.LBB0_13:
	s_or_b64 exec, exec, s[0:1]
	v_add_f32_e32 v0, v13, v6
	v_add_f32_e32 v0, v44, v0
	s_mov_b32 s4, 0xbf29c268
	s_mov_b32 s10, 0xbf6f5d39
	v_add_f32_e32 v48, v8, v0
	s_waitcnt vmcnt(0)
	v_pk_add_f32 v[46:47], v[38:39], v[14:15] neg_lo:[0,1] neg_hi:[0,1]
	s_mov_b32 s20, 0xbf7e222b
	s_mov_b32 s5, 0xbf3f9e67
	;; [unrolled: 1-line block ×4, first 2 shown]
	v_mov_b32_e32 v49, v14
	s_mov_b32 s14, 0x3f29c268
	s_mov_b32 s58, s10
	;; [unrolled: 1-line block ×3, first 2 shown]
	v_pk_add_f32 v[34:35], v[44:45], v[10:11] neg_lo:[0,1] neg_hi:[0,1]
	s_mov_b32 s12, 0xbf52af12
	s_mov_b32 s15, 0x3eedf032
	;; [unrolled: 1-line block ×3, first 2 shown]
	v_pk_add_f32 v[52:53], v[12:13], v[48:49]
	v_pk_mul_f32 v[64:65], v[46:47], s[58:59] op_sel:[1,0]
	s_mov_b32 s54, s14
	s_mov_b32 s55, s18
	;; [unrolled: 1-line block ×5, first 2 shown]
	v_pk_add_f32 v[0:1], v[44:45], v[10:11]
	s_mov_b32 s13, 0x3f116cb1
	s_mov_b32 s3, 0x3f62ad3f
	v_pk_add_f32 v[36:37], v[8:9], v[20:21] neg_lo:[0,1] neg_hi:[0,1]
	v_mov_b32_e32 v28, v12
	v_mov_b32_e32 v29, v38
	s_mov_b32 s44, s5
	s_mov_b32 s45, s21
	v_pk_mul_f32 v[70:71], v[34:35], s[54:55] op_sel:[1,0]
	s_mov_b32 s56, s15
	s_mov_b32 s57, s12
	v_pk_fma_f32 v[50:51], v[52:53], s[52:53], v[64:65] op_sel:[1,0,0] neg_lo:[0,0,1] neg_hi:[0,0,1]
	s_mov_b32 s1, 0xbf788fa5
	v_pk_add_f32 v[18:19], v[8:9], v[20:21]
	v_pk_add_f32 v[40:41], v[28:29], v[26:27] neg_lo:[0,1] neg_hi:[0,1]
	s_mov_b32 s46, s3
	s_mov_b32 s47, s13
	v_pk_mul_f32 v[72:73], v[36:37], s[56:57] op_sel:[1,0]
	s_mov_b32 s25, 0x3e750f2a
	s_mov_b32 s24, s20
	v_pk_fma_f32 v[48:49], v[0:1], s[44:45], v[70:71] op_sel_hi:[0,1,1] neg_lo:[0,0,1] neg_hi:[0,0,1]
	v_pk_add_f32 v[50:51], v[50:51], v[6:7] op_sel_hi:[1,0]
	v_pk_add_f32 v[28:29], v[28:29], v[26:27]
	v_pk_add_f32 v[42:43], v[24:25], v[30:31] neg_lo:[0,1] neg_hi:[0,1]
	s_mov_b32 s48, s21
	s_mov_b32 s49, s1
	v_pk_mul_f32 v[74:75], v[40:41], s[24:25] op_sel:[1,0]
	s_mov_b32 s60, s25
	s_mov_b32 s61, s15
	v_pk_add_f32 v[48:49], v[48:49], v[50:51]
	v_pk_fma_f32 v[50:51], v[18:19], s[46:47], v[72:73] op_sel_hi:[0,1,1] neg_lo:[0,0,1] neg_hi:[0,0,1]
	v_pk_add_f32 v[32:33], v[24:25], v[30:31]
	s_mov_b32 s50, s1
	s_mov_b32 s51, s3
	v_pk_add_f32 v[48:49], v[50:51], v[48:49]
	v_pk_fma_f32 v[50:51], v[28:29], s[48:49], v[74:75] op_sel_hi:[0,1,1] neg_lo:[0,0,1] neg_hi:[0,0,1]
	v_pk_mul_f32 v[76:77], v[42:43], s[60:61] op_sel:[1,0]
	v_pk_add_f32 v[48:49], v[50:51], v[48:49]
	v_pk_fma_f32 v[50:51], v[32:33], s[50:51], v[76:77] op_sel_hi:[0,1,1] neg_lo:[0,0,1] neg_hi:[0,0,1]
	v_pk_add_f32 v[54:55], v[50:51], v[48:49]
	s_mov_b32 s22, 0x3f52af12
	s_mov_b32 s23, s10
	v_pk_add_f32 v[50:51], v[16:17], v[22:23] neg_lo:[0,1] neg_hi:[0,1]
	s_mov_b32 s62, s13
	s_mov_b32 s63, s11
	v_pk_add_f32 v[48:49], v[16:17], v[22:23]
	v_pk_mul_f32 v[78:79], v[50:51], s[22:23] op_sel:[1,0]
	s_mov_b32 s76, s12
	v_pk_fma_f32 v[56:57], v[48:49], s[62:63], v[78:79] op_sel_hi:[0,1,1] neg_lo:[0,0,1] neg_hi:[0,0,1]
	s_mov_b32 s77, s20
	v_pk_add_f32 v[54:55], v[56:57], v[54:55]
	v_mad_u32_u24 v68, v67, 52, 0
	s_mov_b32 s74, s10
	s_mov_b32 s75, s0
	;; [unrolled: 1-line block ×4, first 2 shown]
	v_pk_mul_f32 v[80:81], v[46:47], s[76:77] op_sel:[1,0]
	ds_write2_b32 v68, v55, v54 offset0:8 offset1:9
	s_mov_b32 s66, s11
	s_mov_b32 s67, s1
	v_pk_fma_f32 v[54:55], v[52:53], s[64:65], v[80:81] op_sel:[1,0,0] neg_lo:[0,0,1] neg_hi:[0,0,1]
	v_pk_mul_f32 v[82:83], v[34:35], s[74:75] op_sel:[1,0]
	s_mov_b32 s39, 0x3f6f5d39
	s_mov_b32 s38, s0
	v_pk_add_f32 v[54:55], v[54:55], v[6:7] op_sel_hi:[1,0]
	v_pk_fma_f32 v[56:57], v[0:1], s[66:67], v[82:83] op_sel_hi:[0,1,1] neg_lo:[0,0,1] neg_hi:[0,0,1]
	s_mov_b32 s68, s1
	s_mov_b32 s69, s11
	v_pk_mul_f32 v[84:85], v[36:37], s[38:39] op_sel:[1,0]
	v_pk_add_f32 v[54:55], v[56:57], v[54:55]
	v_pk_fma_f32 v[56:57], v[18:19], s[68:69], v[84:85] op_sel_hi:[0,1,1] neg_lo:[0,0,1] neg_hi:[0,0,1]
	s_mov_b32 s2, s5
	v_pk_mul_f32 v[86:87], v[40:41], s[14:15] op_sel:[1,0]
	s_mov_b32 s19, s12
	v_pk_add_f32 v[54:55], v[56:57], v[54:55]
	v_pk_fma_f32 v[56:57], v[28:29], s[2:3], v[86:87] op_sel_hi:[0,1,1] neg_lo:[0,0,1] neg_hi:[0,0,1]
	s_mov_b32 s70, s21
	s_mov_b32 s71, s13
	v_pk_mul_f32 v[88:89], v[42:43], s[18:19] op_sel:[1,0]
	s_mov_b32 s78, s15
	s_mov_b32 s79, s4
	v_pk_add_f32 v[54:55], v[56:57], v[54:55]
	v_pk_fma_f32 v[56:57], v[32:33], s[70:71], v[88:89] op_sel_hi:[0,1,1] neg_lo:[0,0,1] neg_hi:[0,0,1]
	s_mov_b32 s72, s3
	s_mov_b32 s73, s5
	v_pk_mul_f32 v[90:91], v[50:51], s[78:79] op_sel:[1,0]
	v_add_f32_e32 v8, v39, v7
	v_pk_add_f32 v[54:55], v[56:57], v[54:55]
	v_pk_fma_f32 v[56:57], v[48:49], s[72:73], v[90:91] op_sel_hi:[0,1,1] neg_lo:[0,0,1] neg_hi:[0,0,1]
	v_add_f32_e32 v12, v45, v8
	v_mov_b32_e32 v44, v35
	v_mov_b32_e32 v45, v0
	v_pk_add_f32 v[54:55], v[56:57], v[54:55]
	v_pk_mul_f32 v[92:93], v[44:45], s[12:13]
	ds_write2_b32 v68, v55, v54 offset0:10 offset1:11
	v_mov_b32_e32 v55, v92
	v_pk_fma_f32 v[94:95], v[44:45], s[12:13], v[54:55]
	v_mov_b32_e32 v54, v1
	v_mov_b32_e32 v55, v34
	s_mov_b32 s34, s13
	s_mov_b32 s35, s12
	v_pk_mul_f32 v[44:45], v[54:55], s[34:35]
	s_mov_b32 s36, s21
	v_mov_b32_e32 v57, v44
	v_pk_fma_f32 v[96:97], v[54:55], s[34:35], v[56:57] neg_lo:[1,0,0] neg_hi:[1,0,0]
	v_mov_b32_e32 v54, v37
	v_mov_b32_e32 v55, v18
	v_pk_mul_f32 v[98:99], v[54:55], s[20:21]
	s_mov_b32 s37, s20
	v_mov_b32_e32 v57, v98
	v_pk_fma_f32 v[100:101], v[54:55], s[20:21], v[56:57]
	v_mov_b32_e32 v56, v19
	v_mov_b32_e32 v57, v36
	v_pk_mul_f32 v[54:55], v[56:57], s[36:37]
	s_mov_b32 s26, s11
	v_mov_b32_e32 v59, v54
	v_pk_fma_f32 v[102:103], v[56:57], s[36:37], v[58:59] neg_lo:[1,0,0] neg_hi:[1,0,0]
	v_mov_b32_e32 v56, v41
	v_mov_b32_e32 v57, v28
	v_pk_mul_f32 v[104:105], v[56:57], s[10:11]
	s_mov_b32 s27, s10
	v_mov_b32_e32 v59, v104
	v_pk_fma_f32 v[106:107], v[56:57], s[10:11], v[58:59]
	v_mov_b32_e32 v58, v29
	v_mov_b32_e32 v59, v40
	v_pk_mul_f32 v[56:57], v[58:59], s[26:27]
	v_pk_fma_f32 v[64:65], v[52:53], s[52:53], v[64:65] op_sel:[1,0,0]
	v_mov_b32_e32 v61, v56
	v_pk_fma_f32 v[108:109], v[58:59], s[26:27], v[60:61] neg_lo:[1,0,0] neg_hi:[1,0,0]
	v_mov_b32_e32 v58, v43
	v_mov_b32_e32 v59, v32
	v_pk_mul_f32 v[110:111], v[58:59], s[4:5]
	s_mov_b32 s28, s5
	v_mov_b32_e32 v61, v110
	v_pk_fma_f32 v[112:113], v[58:59], s[4:5], v[60:61]
	v_mov_b32_e32 v60, v33
	v_mov_b32_e32 v61, v42
	s_mov_b32 s29, s4
	v_pk_fma_f32 v[70:71], v[0:1], s[44:45], v[70:71] op_sel_hi:[0,1,1]
	v_pk_add_f32 v[64:65], v[64:65], v[6:7] op_sel_hi:[1,0]
	v_pk_mul_f32 v[58:59], v[60:61], s[28:29]
	v_pk_add_f32 v[64:65], v[70:71], v[64:65]
	v_pk_fma_f32 v[70:71], v[18:19], s[46:47], v[72:73] op_sel_hi:[0,1,1]
	v_mov_b32_e32 v63, v58
	v_pk_add_f32 v[64:65], v[70:71], v[64:65]
	v_pk_fma_f32 v[70:71], v[28:29], s[48:49], v[74:75] op_sel_hi:[0,1,1]
	v_pk_fma_f32 v[114:115], v[60:61], s[28:29], v[62:63] neg_lo:[1,0,0] neg_hi:[1,0,0]
	v_mov_b32_e32 v60, v51
	v_mov_b32_e32 v61, v48
	v_pk_add_f32 v[64:65], v[70:71], v[64:65]
	v_pk_fma_f32 v[70:71], v[32:33], s[50:51], v[76:77] op_sel_hi:[0,1,1]
	v_pk_mul_f32 v[116:117], v[60:61], s[0:1]
	v_pk_add_f32 v[64:65], v[70:71], v[64:65]
	v_pk_fma_f32 v[70:71], v[48:49], s[62:63], v[78:79] op_sel_hi:[0,1,1]
	v_mov_b32_e32 v63, v116
	v_mov_b32_e32 v112, v10
	v_pk_add_f32 v[64:65], v[70:71], v[64:65]
	v_mul_f32_e32 v8, 0x3f62ad3f, v0
	v_mul_f32_e32 v10, 0x3eedf032, v35
	v_pk_fma_f32 v[118:119], v[60:61], s[0:1], v[62:63]
	v_mov_b32_e32 v62, v49
	v_mov_b32_e32 v63, v50
	s_mov_b32 s30, s1
	s_mov_b32 s31, s0
	ds_write2_b32 v68, v64, v65 offset0:4 offset1:5
	v_pk_add_f32 v[64:65], v[8:9], v[10:11]
	v_pk_add_f32 v[70:71], v[8:9], v[10:11] neg_lo:[0,1] neg_hi:[0,1]
	v_mul_f32_e32 v8, 0xbf3f9e67, v18
	v_mul_f32_e32 v10, 0xbf29c268, v37
	v_pk_mul_f32 v[60:61], v[62:63], s[30:31]
	v_mov_b32_e32 v65, v70
	v_pk_add_f32 v[70:71], v[8:9], v[10:11]
	v_pk_add_f32 v[72:73], v[8:9], v[10:11] neg_lo:[0,1] neg_hi:[0,1]
	v_mul_f32_e32 v8, 0x3f116cb1, v28
	v_mul_f32_e32 v10, 0x3f52af12, v41
	v_mov_b32_e32 v69, v60
	v_mov_b32_e32 v71, v72
	v_pk_add_f32 v[72:73], v[8:9], v[10:11]
	v_pk_add_f32 v[74:75], v[8:9], v[10:11] neg_lo:[0,1] neg_hi:[0,1]
	v_mul_f32_e32 v8, 0xbeb58ec6, v32
	v_mul_f32_e32 v10, 0xbf6f5d39, v43
	v_pk_fma_f32 v[120:121], v[62:63], s[30:31], v[68:69] neg_lo:[1,0,0] neg_hi:[1,0,0]
	v_mov_b32_e32 v63, 0x3f62ad3f
	v_mov_b32_e32 v62, v24
	;; [unrolled: 1-line block ×3, first 2 shown]
	v_pk_add_f32 v[74:75], v[8:9], v[10:11]
	v_pk_add_f32 v[76:77], v[8:9], v[10:11] neg_lo:[0,1] neg_hi:[0,1]
	v_mul_f32_e32 v8, 0x3df6dbef, v48
	v_mul_f32_e32 v10, 0x3f7e222b, v51
	v_pk_add_f32 v[122:123], v[24:25], v[52:53]
	v_pk_mul_f32 v[124:125], v[62:63], v[52:53]
	v_mov_b32_e32 v75, v76
	v_pk_add_f32 v[76:77], v[8:9], v[10:11]
	v_pk_add_f32 v[78:79], v[8:9], v[10:11] neg_lo:[0,1] neg_hi:[0,1]
	v_mul_f32_e32 v8, 0xbe750f2a, v47
	v_mul_f32_e32 v10, 0xbf788fa5, v53
	v_mov_b32_e32 v123, v125
	v_mul_f32_e32 v127, 0xbeedf032, v47
	v_pk_fma_f32 v[80:81], v[52:53], s[64:65], v[80:81] op_sel:[1,0,0]
	v_fmac_f32_e32 v125, 0x3eedf032, v47
	v_pk_add_f32 v[46:47], v[10:11], v[8:9]
	v_pk_add_f32 v[52:53], v[10:11], v[8:9] neg_lo:[0,1] neg_hi:[0,1]
	v_add_f32_e32 v8, v9, v12
	v_mov_b32_e32 v47, v52
	v_pk_add_f32 v[46:47], v[46:47], v[6:7] op_sel_hi:[1,0]
	v_mov_b32_e32 v9, v15
	v_pk_add_f32 v[46:47], v[64:65], v[46:47]
	v_pk_add_f32 v[38:39], v[38:39], v[8:9]
	;; [unrolled: 1-line block ×3, first 2 shown]
	v_mov_b32_e32 v62, v25
	v_pk_add_f32 v[46:47], v[72:73], v[46:47]
	v_mov_b32_e32 v77, v78
	v_pk_add_f32 v[46:47], v[74:75], v[46:47]
	v_pk_add_f32 v[8:9], v[62:63], v[38:39]
	v_mov_b32_e32 v10, v17
	v_pk_add_f32 v[46:47], v[76:77], v[46:47]
	v_pk_add_f32 v[8:9], v[8:9], v[10:11] op_sel_hi:[1,0]
	v_mov_b32_e32 v10, v13
	ds_write2_b32 v68, v46, v47 offset0:6 offset1:7
	v_pk_add_f32 v[46:47], v[10:11], v[14:15] op_sel_hi:[0,1] neg_lo:[0,1] neg_hi:[0,1]
	v_mov_b32_e32 v12, v17
	v_mul_f32_e32 v13, 0xbeedf032, v46
	v_pk_fma_f32 v[12:13], v[62:63], v[38:39], v[12:13] neg_lo:[0,0,1] neg_hi:[0,0,1]
	v_mov_b32_e32 v126, v16
	v_mov_b32_e32 v9, v13
	;; [unrolled: 1-line block ×4, first 2 shown]
	v_sub_f32_e32 v10, v93, v92
	v_add_f32_e32 v17, v125, v6
	v_pk_add_f32 v[122:123], v[126:127], v[122:123]
	v_mov_b32_e32 v126, v22
	v_mov_b32_e32 v127, v6
	v_pk_add_f32 v[8:9], v[12:13], v[8:9]
	v_sub_f32_e32 v12, v99, v98
	v_add_f32_e32 v10, v10, v17
	v_pk_add_f32 v[122:123], v[126:127], v[122:123]
	v_mov_b32_e32 v94, v30
	v_pk_fma_f32 v[82:83], v[0:1], s[66:67], v[82:83] op_sel_hi:[0,1,1]
	v_pk_add_f32 v[80:81], v[80:81], v[6:7] op_sel_hi:[1,0]
	v_mov_b32_e32 v96, v31
	v_sub_f32_e32 v13, v105, v104
	v_add_f32_e32 v10, v12, v10
	v_pk_add_f32 v[94:95], v[94:95], v[122:123]
	v_mov_b32_e32 v100, v26
	v_mov_b32_e32 v118, v14
	v_pk_add_f32 v[80:81], v[82:83], v[80:81]
	v_pk_fma_f32 v[82:83], v[18:19], s[68:69], v[84:85] op_sel_hi:[0,1,1]
	v_sub_f32_e32 v14, v111, v110
	v_add_f32_e32 v10, v13, v10
	v_pk_add_f32 v[12:13], v[96:97], v[8:9]
	v_mov_b32_e32 v102, v27
	v_pk_add_f32 v[94:95], v[100:101], v[94:95]
	v_mov_b32_e32 v106, v20
	v_pk_add_f32 v[80:81], v[82:83], v[80:81]
	v_pk_fma_f32 v[82:83], v[28:29], s[2:3], v[86:87] op_sel_hi:[0,1,1]
	v_sub_f32_e32 v16, v117, v116
	v_add_f32_e32 v10, v14, v10
	v_pk_add_f32 v[12:13], v[102:103], v[12:13]
	v_mov_b32_e32 v108, v21
	v_pk_add_f32 v[94:95], v[106:107], v[94:95]
	v_pk_add_f32 v[80:81], v[82:83], v[80:81]
	v_pk_fma_f32 v[82:83], v[32:33], s[70:71], v[88:89] op_sel_hi:[0,1,1]
	v_add_f32_e32 v10, v16, v10
	s_movk_i32 s33, 0xffd0
	v_pk_add_f32 v[12:13], v[108:109], v[12:13]
	v_mov_b32_e32 v114, v11
	v_pk_add_f32 v[94:95], v[112:113], v[94:95]
	v_pk_add_f32 v[80:81], v[82:83], v[80:81]
	v_pk_fma_f32 v[82:83], v[48:49], s[72:73], v[90:91] op_sel_hi:[0,1,1]
	ds_write_b32 v68, v10 offset:48
	v_mad_i32_i24 v24, v67, s33, v68
	v_pk_add_f32 v[10:11], v[114:115], v[12:13]
	v_mov_b32_e32 v120, v15
	v_pk_add_f32 v[94:95], v[118:119], v[94:95]
	v_pk_add_f32 v[80:81], v[82:83], v[80:81]
	v_add_u32_e32 v14, 0x400, v24
	v_add_u32_e32 v25, 0xa00, v24
	;; [unrolled: 1-line block ×5, first 2 shown]
	v_pk_add_f32 v[52:53], v[120:121], v[10:11]
	ds_write2_b32 v68, v94, v95 offset1:1
	ds_write2_b32 v68, v80, v81 offset0:2 offset1:3
	s_load_dwordx2 s[42:43], s[40:41], 0x0
	s_waitcnt lgkmcnt(0)
	s_barrier
	ds_read2_b32 v[8:9], v24 offset1:169
	ds_read2_b32 v[22:23], v14 offset0:82 offset1:251
	ds_read2_b32 v[20:21], v25 offset0:36 offset1:205
	;; [unrolled: 1-line block ×5, first 2 shown]
	ds_read_b32 v31, v24 offset:8112
	s_waitcnt lgkmcnt(0)
	s_barrier
	ds_write2_b32 v68, v52, v53 offset1:1
	v_pk_mul_f32 v[52:53], v[46:47], s[76:77] op_sel_hi:[0,1]
	v_pk_fma_f32 v[64:65], v[38:39], s[64:65], v[52:53] op_sel:[1,0,0] neg_lo:[0,0,1] neg_hi:[0,0,1]
	v_pk_mul_f32 v[70:71], v[34:35], s[74:75] op_sel_hi:[0,1]
	v_pk_add_f32 v[64:65], v[64:65], v[6:7] op_sel:[0,1]
	v_pk_fma_f32 v[72:73], v[0:1], s[66:67], v[70:71] op_sel:[1,0,0] neg_lo:[0,0,1] neg_hi:[0,0,1]
	v_pk_mul_f32 v[82:83], v[34:35], s[54:55] op_sel_hi:[0,1]
	v_pk_add_f32 v[64:65], v[72:73], v[64:65]
	v_pk_mul_f32 v[72:73], v[36:37], s[38:39] op_sel_hi:[0,1]
	v_pk_fma_f32 v[74:75], v[18:19], s[68:69], v[72:73] op_sel:[1,0,0] neg_lo:[0,0,1] neg_hi:[0,0,1]
	v_pk_fma_f32 v[84:85], v[0:1], s[44:45], v[82:83] op_sel:[1,0,0] neg_lo:[0,0,1] neg_hi:[0,0,1]
	v_pk_add_f32 v[64:65], v[74:75], v[64:65]
	v_pk_mul_f32 v[74:75], v[40:41], s[14:15] op_sel_hi:[0,1]
	v_pk_fma_f32 v[76:77], v[28:29], s[2:3], v[74:75] op_sel:[1,0,0] neg_lo:[0,0,1] neg_hi:[0,0,1]
	v_mul_f32_e32 v34, 0x3eedf032, v34
	v_pk_add_f32 v[64:65], v[76:77], v[64:65]
	v_pk_mul_f32 v[76:77], v[42:43], s[18:19] op_sel_hi:[0,1]
	v_pk_fma_f32 v[78:79], v[32:33], s[70:71], v[76:77] op_sel:[1,0,0] neg_lo:[0,0,1] neg_hi:[0,0,1]
	v_add_f32_e32 v15, v44, v45
	v_pk_add_f32 v[64:65], v[78:79], v[64:65]
	v_pk_mul_f32 v[78:79], v[50:51], s[78:79] op_sel_hi:[0,1]
	v_pk_fma_f32 v[80:81], v[48:49], s[72:73], v[78:79] op_sel:[1,0,0] neg_lo:[0,0,1] neg_hi:[0,0,1]
	s_mov_b32 s41, 0xbeedf032
	v_pk_add_f32 v[64:65], v[80:81], v[64:65]
	ds_write2_b32 v68, v64, v65 offset0:2 offset1:3
	v_pk_mul_f32 v[64:65], v[46:47], s[58:59] op_sel_hi:[0,1]
	v_pk_fma_f32 v[80:81], v[38:39], s[52:53], v[64:65] op_sel:[1,0,0] neg_lo:[0,0,1] neg_hi:[0,0,1]
	s_nop 0
	v_pk_add_f32 v[80:81], v[80:81], v[6:7] op_sel:[0,1]
	s_nop 0
	v_pk_add_f32 v[80:81], v[84:85], v[80:81]
	v_pk_mul_f32 v[84:85], v[36:37], s[56:57] op_sel_hi:[0,1]
	v_pk_fma_f32 v[86:87], v[18:19], s[46:47], v[84:85] op_sel:[1,0,0] neg_lo:[0,0,1] neg_hi:[0,0,1]
	s_nop 0
	v_pk_add_f32 v[80:81], v[86:87], v[80:81]
	v_pk_mul_f32 v[86:87], v[40:41], s[24:25] op_sel_hi:[0,1]
	v_pk_fma_f32 v[88:89], v[28:29], s[48:49], v[86:87] op_sel:[1,0,0] neg_lo:[0,0,1] neg_hi:[0,0,1]
	;; [unrolled: 4-line block ×4, first 2 shown]
	v_pk_fma_f32 v[44:45], v[48:49], s[62:63], v[90:91] op_sel:[1,0,0]
	v_pk_add_f32 v[80:81], v[92:93], v[80:81]
	ds_write2_b32 v68, v80, v81 offset0:4 offset1:5
	v_mul_f32_e32 v80, 0x3f62ad3f, v1
	v_pk_add_f32 v[92:93], v[80:81], v[34:35] neg_lo:[0,1] neg_hi:[0,1]
	v_pk_add_f32 v[34:35], v[80:81], v[34:35]
	s_nop 0
	v_mov_b32_e32 v93, v34
	v_mul_f32_e32 v34, 0xbf29c268, v36
	v_mul_f32_e32 v36, 0xbf3f9e67, v19
	v_pk_add_f32 v[80:81], v[36:37], v[34:35] neg_lo:[0,1] neg_hi:[0,1]
	v_pk_add_f32 v[34:35], v[36:37], v[34:35]
	v_mul_f32_e32 v36, 0x3f116cb1, v29
	v_mov_b32_e32 v81, v34
	v_mul_f32_e32 v34, 0x3f52af12, v40
	v_pk_add_f32 v[40:41], v[36:37], v[34:35] neg_lo:[0,1] neg_hi:[0,1]
	v_pk_add_f32 v[34:35], v[36:37], v[34:35]
	v_mul_f32_e32 v36, 0xbeb58ec6, v33
	v_mov_b32_e32 v41, v34
	;; [unrolled: 5-line block ×4, first 2 shown]
	v_pk_mul_f32 v[34:35], v[62:63], v[38:39]
	s_nop 0
	v_fmac_f32_e32 v35, 0xbeedf032, v46
	v_mul_f32_e32 v34, 0xbe750f2a, v46
	v_pk_add_f32 v[46:47], v[36:37], v[34:35] neg_lo:[0,1] neg_hi:[0,1]
	v_pk_add_f32 v[36:37], v[36:37], v[34:35]
	v_add_f32_e32 v35, v35, v7
	v_mov_b32_e32 v47, v36
	v_pk_add_f32 v[36:37], v[46:47], v[6:7] op_sel:[0,1]
	v_add_f32_e32 v34, v54, v55
	v_pk_add_f32 v[36:37], v[92:93], v[36:37]
	v_add_f32_e32 v15, v15, v35
	v_pk_add_f32 v[36:37], v[80:81], v[36:37]
	;; [unrolled: 2-line block ×3, first 2 shown]
	v_pk_fma_f32 v[46:47], v[38:39], s[52:53], v[64:65] op_sel:[1,0,0]
	v_pk_add_f32 v[36:37], v[42:43], v[36:37]
	v_pk_fma_f32 v[34:35], v[0:1], s[44:45], v[82:83] op_sel:[1,0,0]
	v_pk_add_f32 v[36:37], v[50:51], v[36:37]
	ds_write2_b32 v68, v36, v37 offset0:6 offset1:7
	v_add_f32_e32 v36, v56, v57
	v_add_f32_e32 v37, v58, v59
	;; [unrolled: 1-line block ×3, first 2 shown]
	v_pk_add_f32 v[46:47], v[46:47], v[6:7] op_sel:[0,1]
	v_add_f32_e32 v15, v37, v15
	v_pk_fma_f32 v[36:37], v[18:19], s[46:47], v[84:85] op_sel:[1,0,0]
	v_pk_add_f32 v[34:35], v[34:35], v[46:47]
	v_add_f32_e32 v40, v60, v61
	v_pk_add_f32 v[34:35], v[36:37], v[34:35]
	v_pk_fma_f32 v[36:37], v[38:39], s[64:65], v[52:53] op_sel:[1,0,0]
	v_add_f32_e32 v50, v40, v15
	v_pk_fma_f32 v[40:41], v[28:29], s[48:49], v[86:87] op_sel:[1,0,0]
	v_pk_fma_f32 v[0:1], v[0:1], s[66:67], v[70:71] op_sel:[1,0,0]
	v_pk_add_f32 v[6:7], v[36:37], v[6:7] op_sel:[0,1]
	v_pk_fma_f32 v[42:43], v[32:33], s[50:51], v[88:89] op_sel:[1,0,0]
	v_pk_add_f32 v[34:35], v[40:41], v[34:35]
	v_pk_fma_f32 v[18:19], v[18:19], s[68:69], v[72:73] op_sel:[1,0,0]
	v_pk_add_f32 v[0:1], v[0:1], v[6:7]
	v_pk_add_f32 v[34:35], v[42:43], v[34:35]
	v_pk_fma_f32 v[28:29], v[28:29], s[2:3], v[74:75] op_sel:[1,0,0]
	v_pk_add_f32 v[0:1], v[18:19], v[0:1]
	;; [unrolled: 3-line block ×3, first 2 shown]
	ds_write2_b32 v68, v35, v34 offset0:8 offset1:9
	v_pk_fma_f32 v[34:35], v[48:49], s[72:73], v[78:79] op_sel:[1,0,0]
	v_pk_add_f32 v[0:1], v[32:33], v[0:1]
	s_movk_i32 s2, 0x4f
	v_pk_add_f32 v[0:1], v[34:35], v[0:1]
	ds_write2_b32 v68, v1, v0 offset0:10 offset1:11
	ds_write_b32 v68, v50 offset:48
	v_mul_lo_u16_sdwa v0, v67, s2 dst_sel:DWORD dst_unused:UNUSED_PAD src0_sel:BYTE_0 src1_sel:DWORD
	v_lshrrev_b16_e32 v0, 10, v0
	v_mul_lo_u16_e32 v1, 13, v0
	v_sub_u16_e32 v1, v67, v1
	v_mov_b32_e32 v6, 12
	v_mul_u32_u24_sdwa v6, v1, v6 dst_sel:DWORD dst_unused:UNUSED_PAD src0_sel:BYTE_0 src1_sel:DWORD
	v_lshlrev_b32_e32 v6, 3, v6
	s_waitcnt lgkmcnt(0)
	s_barrier
	global_load_dwordx4 v[32:35], v6, s[8:9]
	global_load_dwordx4 v[36:39], v6, s[8:9] offset:16
	global_load_dwordx4 v[40:43], v6, s[8:9] offset:32
	;; [unrolled: 1-line block ×5, first 2 shown]
	ds_read2_b32 v[6:7], v24 offset1:169
	ds_read2_b32 v[18:19], v14 offset0:82 offset1:251
	ds_read2_b32 v[28:29], v25 offset0:36 offset1:205
	;; [unrolled: 1-line block ×3, first 2 shown]
	v_mul_u32_u24_e32 v0, 0x2a4, v0
	s_waitcnt vmcnt(5) lgkmcnt(3)
	v_mul_f32_e32 v15, v7, v33
	v_fmac_f32_e32 v15, v9, v32
	v_mul_f32_e32 v9, v9, v33
	v_fma_f32 v7, v7, v32, -v9
	s_waitcnt lgkmcnt(2)
	v_mul_f32_e32 v9, v18, v35
	v_fmac_f32_e32 v9, v22, v34
	v_mul_f32_e32 v22, v22, v35
	v_fma_f32 v18, v18, v34, -v22
	ds_read2_b32 v[32:33], v27 offset0:72 offset1:241
	ds_read2_b32 v[34:35], v30 offset0:26 offset1:195
	s_waitcnt vmcnt(4)
	v_mul_f32_e32 v22, v19, v37
	v_fmac_f32_e32 v22, v23, v36
	v_mul_f32_e32 v23, v23, v37
	v_fma_f32 v19, v19, v36, -v23
	s_waitcnt lgkmcnt(3)
	v_mul_f32_e32 v23, v28, v39
	v_fmac_f32_e32 v23, v20, v38
	v_mul_f32_e32 v20, v20, v39
	v_fma_f32 v20, v28, v38, -v20
	s_waitcnt vmcnt(2) lgkmcnt(1)
	v_mul_f32_e32 v38, v32, v47
	v_fmac_f32_e32 v38, v12, v46
	v_mul_f32_e32 v12, v12, v47
	v_fma_f32 v12, v32, v46, -v12
	s_waitcnt vmcnt(1)
	v_mul_f32_e32 v32, v33, v49
	ds_read_b32 v37, v24 offset:8112
	v_fmac_f32_e32 v32, v13, v48
	v_mul_f32_e32 v13, v13, v49
	v_fma_f32 v13, v33, v48, -v13
	s_waitcnt lgkmcnt(1)
	v_mul_f32_e32 v33, v34, v51
	v_fmac_f32_e32 v33, v10, v50
	v_mul_f32_e32 v10, v10, v51
	v_fma_f32 v10, v34, v50, -v10
	s_waitcnt vmcnt(0)
	v_mul_f32_e32 v34, v35, v53
	v_fmac_f32_e32 v34, v11, v52
	v_mul_f32_e32 v11, v11, v53
	v_fma_f32 v11, v35, v52, -v11
	s_waitcnt lgkmcnt(0)
	v_mul_f32_e32 v35, v37, v55
	v_mul_f32_e32 v28, v29, v41
	v_fmac_f32_e32 v35, v31, v54
	v_mul_f32_e32 v31, v31, v55
	v_add_f32_e32 v39, v6, v7
	v_fmac_f32_e32 v28, v21, v40
	v_mul_f32_e32 v21, v21, v41
	v_fma_f32 v31, v37, v54, -v31
	v_add_f32_e32 v37, v8, v15
	v_add_f32_e32 v39, v39, v18
	v_fma_f32 v21, v29, v40, -v21
	v_mul_f32_e32 v29, v56, v43
	v_add_f32_e32 v37, v37, v9
	v_add_f32_e32 v39, v39, v19
	v_fmac_f32_e32 v29, v16, v42
	v_mul_f32_e32 v16, v16, v43
	v_mul_f32_e32 v36, v57, v45
	v_add_f32_e32 v37, v37, v22
	v_add_f32_e32 v39, v39, v20
	v_fma_f32 v16, v56, v42, -v16
	v_fmac_f32_e32 v36, v17, v44
	v_mul_f32_e32 v17, v17, v45
	v_add_f32_e32 v37, v37, v23
	v_add_f32_e32 v39, v39, v21
	v_fma_f32 v17, v57, v44, -v17
	v_add_f32_e32 v37, v37, v28
	v_add_f32_e32 v39, v39, v16
	;; [unrolled: 1-line block ×13, first 2 shown]
	v_sub_f32_e32 v7, v7, v31
	v_add_f32_e32 v37, v37, v34
	v_add_f32_e32 v39, v39, v31
	;; [unrolled: 1-line block ×3, first 2 shown]
	v_mul_f32_e32 v31, 0xbeedf032, v7
	v_mul_f32_e32 v44, 0xbf52af12, v7
	;; [unrolled: 1-line block ×6, first 2 shown]
	v_add_f32_e32 v37, v37, v35
	v_sub_f32_e32 v15, v15, v35
	v_fmamk_f32 v35, v40, 0x3f62ad3f, v31
	v_mul_f32_e32 v42, 0x3f62ad3f, v41
	v_fma_f32 v31, v40, s3, -v31
	v_fmamk_f32 v45, v40, 0x3f116cb1, v44
	v_mul_f32_e32 v46, 0x3f116cb1, v41
	v_fma_f32 v44, v40, s13, -v44
	;; [unrolled: 3-line block ×5, first 2 shown]
	v_fmamk_f32 v59, v40, 0xbf788fa5, v7
	v_fma_f32 v7, v40, s1, -v7
	v_mul_f32_e32 v41, 0xbf788fa5, v41
	v_add_f32_e32 v35, v8, v35
	v_fmamk_f32 v43, v15, 0x3eedf032, v42
	v_add_f32_e32 v31, v8, v31
	v_fmac_f32_e32 v42, 0xbeedf032, v15
	v_add_f32_e32 v45, v8, v45
	v_fmamk_f32 v47, v15, 0x3f52af12, v46
	v_add_f32_e32 v44, v8, v44
	v_fmac_f32_e32 v46, 0xbf52af12, v15
	;; [unrolled: 4-line block ×5, first 2 shown]
	v_add_f32_e32 v59, v8, v59
	v_add_f32_e32 v7, v8, v7
	v_fmamk_f32 v8, v15, 0x3e750f2a, v41
	v_fmac_f32_e32 v41, 0xbe750f2a, v15
	v_add_f32_e32 v43, v6, v43
	v_add_f32_e32 v42, v6, v42
	;; [unrolled: 1-line block ×13, first 2 shown]
	v_sub_f32_e32 v11, v18, v11
	v_add_f32_e32 v15, v9, v34
	v_mul_f32_e32 v18, 0xbf52af12, v11
	v_sub_f32_e32 v9, v9, v34
	v_fmamk_f32 v34, v15, 0x3f116cb1, v18
	v_add_f32_e32 v34, v34, v35
	v_mul_f32_e32 v35, 0x3f116cb1, v41
	v_fmamk_f32 v60, v9, 0x3f52af12, v35
	v_fma_f32 v18, v15, s13, -v18
	v_fmac_f32_e32 v35, 0xbf52af12, v9
	v_add_f32_e32 v18, v18, v31
	v_add_f32_e32 v31, v35, v42
	v_mul_f32_e32 v35, 0xbf6f5d39, v11
	v_fmamk_f32 v42, v15, 0xbeb58ec6, v35
	v_add_f32_e32 v42, v42, v45
	v_mul_f32_e32 v45, 0xbeb58ec6, v41
	v_add_f32_e32 v43, v60, v43
	v_fmamk_f32 v60, v9, 0x3f6f5d39, v45
	v_fma_f32 v35, v15, s11, -v35
	v_fmac_f32_e32 v45, 0xbf6f5d39, v9
	v_add_f32_e32 v35, v35, v44
	v_add_f32_e32 v44, v45, v46
	v_mul_f32_e32 v45, 0xbe750f2a, v11
	v_fmamk_f32 v46, v15, 0xbf788fa5, v45
	v_add_f32_e32 v46, v46, v49
	v_mul_f32_e32 v49, 0xbf788fa5, v41
	v_add_f32_e32 v47, v60, v47
	v_fmamk_f32 v60, v9, 0x3e750f2a, v49
	v_fma_f32 v45, v15, s1, -v45
	v_fmac_f32_e32 v49, 0xbe750f2a, v9
	v_add_f32_e32 v45, v45, v48
	v_add_f32_e32 v48, v49, v50
	v_mul_f32_e32 v49, 0x3f29c268, v11
	v_fmamk_f32 v50, v15, 0xbf3f9e67, v49
	v_add_f32_e32 v50, v50, v53
	v_mul_f32_e32 v53, 0xbf3f9e67, v41
	v_add_f32_e32 v51, v60, v51
	v_fmamk_f32 v60, v9, 0xbf29c268, v53
	v_fma_f32 v49, v15, s5, -v49
	v_fmac_f32_e32 v53, 0x3f29c268, v9
	v_add_f32_e32 v49, v49, v52
	v_add_f32_e32 v52, v53, v54
	v_mul_f32_e32 v53, 0x3f7e222b, v11
	v_fmamk_f32 v54, v15, 0x3df6dbef, v53
	v_add_f32_e32 v54, v54, v57
	v_mul_f32_e32 v57, 0x3df6dbef, v41
	v_add_f32_e32 v55, v60, v55
	v_fmamk_f32 v60, v9, 0xbf7e222b, v57
	v_fma_f32 v53, v15, s21, -v53
	v_fmac_f32_e32 v57, 0x3f7e222b, v9
	v_mul_f32_e32 v11, 0x3eedf032, v11
	v_add_f32_e32 v53, v53, v56
	v_add_f32_e32 v56, v57, v58
	v_fmamk_f32 v57, v15, 0x3f62ad3f, v11
	v_fma_f32 v11, v15, s3, -v11
	v_mul_f32_e32 v41, 0x3f62ad3f, v41
	v_add_f32_e32 v7, v11, v7
	v_add_f32_e32 v11, v19, v10
	v_sub_f32_e32 v10, v19, v10
	v_fmamk_f32 v58, v9, 0xbeedf032, v41
	v_fmac_f32_e32 v41, 0x3eedf032, v9
	v_add_f32_e32 v9, v22, v33
	v_mul_f32_e32 v19, 0xbf7e222b, v10
	v_sub_f32_e32 v15, v22, v33
	v_fmamk_f32 v22, v9, 0x3df6dbef, v19
	v_mul_f32_e32 v33, 0x3df6dbef, v11
	v_add_f32_e32 v22, v22, v34
	v_fmamk_f32 v34, v15, 0x3f7e222b, v33
	v_fma_f32 v19, v9, s21, -v19
	v_fmac_f32_e32 v33, 0xbf7e222b, v15
	v_add_f32_e32 v18, v19, v18
	v_add_f32_e32 v19, v33, v31
	v_mul_f32_e32 v31, 0xbe750f2a, v10
	v_add_f32_e32 v6, v41, v6
	v_fmamk_f32 v33, v9, 0xbf788fa5, v31
	v_mul_f32_e32 v41, 0xbf788fa5, v11
	v_add_f32_e32 v33, v33, v42
	v_fmamk_f32 v42, v15, 0x3e750f2a, v41
	v_fma_f32 v31, v9, s1, -v31
	v_fmac_f32_e32 v41, 0xbe750f2a, v15
	v_add_f32_e32 v31, v31, v35
	v_add_f32_e32 v35, v41, v44
	v_mul_f32_e32 v41, 0x3f6f5d39, v10
	v_add_f32_e32 v34, v34, v43
	v_fmamk_f32 v43, v9, 0xbeb58ec6, v41
	v_mul_f32_e32 v44, 0xbeb58ec6, v11
	v_fma_f32 v41, v9, s11, -v41
	v_add_f32_e32 v43, v43, v46
	v_fmamk_f32 v46, v15, 0xbf6f5d39, v44
	v_add_f32_e32 v41, v41, v45
	v_fmac_f32_e32 v44, 0x3f6f5d39, v15
	v_mul_f32_e32 v45, 0x3eedf032, v10
	v_add_f32_e32 v42, v42, v47
	v_add_f32_e32 v44, v44, v48
	v_fmamk_f32 v47, v9, 0x3f62ad3f, v45
	v_mul_f32_e32 v48, 0x3f62ad3f, v11
	v_fma_f32 v45, v9, s3, -v45
	v_add_f32_e32 v47, v47, v50
	v_fmamk_f32 v50, v15, 0xbeedf032, v48
	v_add_f32_e32 v45, v45, v49
	v_fmac_f32_e32 v48, 0x3eedf032, v15
	v_mul_f32_e32 v49, 0xbf52af12, v10
	v_add_f32_e32 v46, v46, v51
	v_add_f32_e32 v48, v48, v52
	v_fmamk_f32 v51, v9, 0x3f116cb1, v49
	v_mul_f32_e32 v52, 0x3f116cb1, v11
	v_fma_f32 v49, v9, s13, -v49
	v_mul_f32_e32 v10, 0xbf29c268, v10
	v_add_f32_e32 v40, v60, v40
	v_add_f32_e32 v51, v51, v54
	v_fmamk_f32 v54, v15, 0x3f52af12, v52
	v_add_f32_e32 v49, v49, v53
	v_fmamk_f32 v53, v9, 0xbf3f9e67, v10
	v_mul_f32_e32 v11, 0xbf3f9e67, v11
	v_fma_f32 v9, v9, s5, -v10
	v_add_f32_e32 v10, v20, v13
	v_sub_f32_e32 v13, v20, v13
	v_add_f32_e32 v40, v54, v40
	v_fmac_f32_e32 v52, 0xbf52af12, v15
	v_fmamk_f32 v54, v15, 0x3f29c268, v11
	v_add_f32_e32 v7, v9, v7
	v_fmac_f32_e32 v11, 0xbf29c268, v15
	v_add_f32_e32 v9, v23, v32
	v_mul_f32_e32 v15, 0xbf6f5d39, v13
	v_fmamk_f32 v20, v9, 0xbeb58ec6, v15
	v_add_f32_e32 v6, v11, v6
	v_sub_f32_e32 v11, v23, v32
	v_add_f32_e32 v20, v20, v22
	v_mul_f32_e32 v22, 0xbeb58ec6, v10
	v_fmamk_f32 v23, v11, 0x3f6f5d39, v22
	v_fma_f32 v15, v9, s11, -v15
	v_fmac_f32_e32 v22, 0xbf6f5d39, v11
	v_add_f32_e32 v15, v15, v18
	v_add_f32_e32 v18, v22, v19
	v_mul_f32_e32 v19, 0x3f29c268, v13
	v_fmamk_f32 v22, v9, 0xbf3f9e67, v19
	v_mul_f32_e32 v32, 0xbf3f9e67, v10
	v_add_f32_e32 v22, v22, v33
	v_fmamk_f32 v33, v11, 0xbf29c268, v32
	v_fma_f32 v19, v9, s5, -v19
	v_fmac_f32_e32 v32, 0x3f29c268, v11
	v_add_f32_e32 v19, v19, v31
	v_add_f32_e32 v31, v32, v35
	v_mul_f32_e32 v35, 0x3f62ad3f, v10
	v_add_f32_e32 v33, v33, v42
	v_mul_f32_e32 v32, 0x3eedf032, v13
	v_fmamk_f32 v42, v11, 0xbeedf032, v35
	v_fmac_f32_e32 v35, 0x3eedf032, v11
	v_add_f32_e32 v23, v23, v34
	v_fmamk_f32 v34, v9, 0x3f62ad3f, v32
	v_fma_f32 v32, v9, s3, -v32
	v_add_f32_e32 v35, v35, v44
	v_mul_f32_e32 v44, 0x3df6dbef, v10
	v_add_f32_e32 v42, v42, v46
	v_add_f32_e32 v32, v32, v41
	v_mul_f32_e32 v41, 0xbf7e222b, v13
	v_fmamk_f32 v46, v11, 0x3f7e222b, v44
	v_fmac_f32_e32 v44, 0xbf7e222b, v11
	v_add_f32_e32 v50, v50, v55
	v_add_f32_e32 v34, v34, v43
	v_fmamk_f32 v43, v9, 0x3df6dbef, v41
	v_fma_f32 v41, v9, s21, -v41
	v_add_f32_e32 v44, v44, v48
	v_mul_f32_e32 v48, 0xbf788fa5, v10
	v_add_f32_e32 v46, v46, v50
	v_add_f32_e32 v41, v41, v45
	v_mul_f32_e32 v45, 0x3e750f2a, v13
	v_fmamk_f32 v50, v11, 0xbe750f2a, v48
	v_mul_f32_e32 v10, 0x3f116cb1, v10
	v_add_f32_e32 v43, v43, v47
	v_fmamk_f32 v47, v9, 0xbf788fa5, v45
	v_add_f32_e32 v40, v50, v40
	v_fma_f32 v45, v9, s1, -v45
	v_mul_f32_e32 v13, 0x3f52af12, v13
	v_fmamk_f32 v50, v11, 0xbf52af12, v10
	v_fmac_f32_e32 v10, 0x3f52af12, v11
	v_add_f32_e32 v45, v45, v49
	v_fmamk_f32 v49, v9, 0x3f116cb1, v13
	v_fma_f32 v9, v9, s13, -v13
	v_add_f32_e32 v6, v10, v6
	v_add_f32_e32 v10, v21, v12
	v_sub_f32_e32 v12, v21, v12
	v_add_f32_e32 v7, v9, v7
	v_add_f32_e32 v9, v28, v38
	v_mul_f32_e32 v13, 0xbf29c268, v12
	v_fmamk_f32 v21, v9, 0xbf3f9e67, v13
	v_fmac_f32_e32 v48, 0x3e750f2a, v11
	v_sub_f32_e32 v11, v28, v38
	v_add_f32_e32 v20, v21, v20
	v_mul_f32_e32 v21, 0xbf3f9e67, v10
	v_fmamk_f32 v28, v11, 0x3f29c268, v21
	v_fma_f32 v13, v9, s5, -v13
	v_fmac_f32_e32 v21, 0xbf29c268, v11
	v_add_f32_e32 v13, v13, v15
	v_add_f32_e32 v15, v21, v18
	v_mul_f32_e32 v18, 0x3f7e222b, v12
	v_fmamk_f32 v21, v9, 0x3df6dbef, v18
	v_add_f32_e32 v21, v21, v22
	v_mul_f32_e32 v22, 0x3df6dbef, v10
	v_add_f32_e32 v23, v28, v23
	v_fmamk_f32 v28, v11, 0xbf7e222b, v22
	v_fma_f32 v18, v9, s21, -v18
	v_fmac_f32_e32 v22, 0x3f7e222b, v11
	v_add_f32_e32 v18, v18, v19
	v_add_f32_e32 v19, v22, v31
	v_mul_f32_e32 v22, 0xbf52af12, v12
	v_add_f32_e32 v28, v28, v33
	v_fmamk_f32 v31, v9, 0x3f116cb1, v22
	v_mul_f32_e32 v33, 0x3f116cb1, v10
	v_add_f32_e32 v31, v31, v34
	v_fmamk_f32 v34, v11, 0x3f52af12, v33
	v_fma_f32 v22, v9, s13, -v22
	v_fmac_f32_e32 v33, 0xbf52af12, v11
	v_add_f32_e32 v22, v22, v32
	v_add_f32_e32 v32, v33, v35
	v_mul_f32_e32 v33, 0x3e750f2a, v12
	v_mul_f32_e32 v38, 0xbf788fa5, v10
	v_add_f32_e32 v34, v34, v42
	v_fmamk_f32 v35, v9, 0xbf788fa5, v33
	v_fmamk_f32 v42, v11, 0xbe750f2a, v38
	v_fma_f32 v33, v9, s1, -v33
	v_fmac_f32_e32 v38, 0x3e750f2a, v11
	v_add_f32_e32 v33, v33, v41
	v_add_f32_e32 v38, v38, v44
	v_mul_f32_e32 v41, 0x3eedf032, v12
	v_mul_f32_e32 v44, 0x3f62ad3f, v10
	v_add_f32_e32 v35, v35, v43
	v_add_f32_e32 v42, v42, v46
	v_fmamk_f32 v43, v9, 0x3f62ad3f, v41
	v_fmamk_f32 v46, v11, 0xbeedf032, v44
	v_fma_f32 v41, v9, s3, -v41
	v_mul_f32_e32 v12, 0xbf6f5d39, v12
	v_mul_f32_e32 v10, 0xbeb58ec6, v10
	v_add_f32_e32 v40, v46, v40
	v_add_f32_e32 v41, v41, v45
	v_fmamk_f32 v45, v9, 0xbeb58ec6, v12
	v_fmamk_f32 v46, v11, 0x3f6f5d39, v10
	v_fma_f32 v9, v9, s11, -v12
	v_fmac_f32_e32 v10, 0xbf6f5d39, v11
	v_sub_f32_e32 v12, v16, v17
	v_add_f32_e32 v7, v9, v7
	v_add_f32_e32 v6, v10, v6
	;; [unrolled: 1-line block ×4, first 2 shown]
	v_mul_f32_e32 v16, 0xbe750f2a, v12
	v_fmamk_f32 v17, v9, 0xbf788fa5, v16
	v_fmac_f32_e32 v44, 0x3eedf032, v11
	v_sub_f32_e32 v11, v29, v36
	v_add_f32_e32 v17, v17, v20
	v_mul_f32_e32 v20, 0xbf788fa5, v10
	v_fmamk_f32 v29, v11, 0x3e750f2a, v20
	v_fmac_f32_e32 v20, 0xbe750f2a, v11
	v_fma_f32 v16, v9, s1, -v16
	v_add_f32_e32 v20, v20, v15
	v_mul_f32_e32 v15, 0x3eedf032, v12
	v_add_f32_e32 v13, v16, v13
	v_fmamk_f32 v16, v9, 0x3f62ad3f, v15
	v_add_f32_e32 v16, v16, v21
	v_mul_f32_e32 v21, 0x3f62ad3f, v10
	v_add_f32_e32 v23, v29, v23
	v_fmamk_f32 v29, v11, 0xbeedf032, v21
	v_fma_f32 v15, v9, s3, -v15
	v_fmac_f32_e32 v21, 0x3eedf032, v11
	v_add_f32_e32 v15, v15, v18
	v_add_f32_e32 v18, v21, v19
	v_mul_f32_e32 v19, 0xbf29c268, v12
	v_add_f32_e32 v28, v29, v28
	v_fmamk_f32 v21, v9, 0xbf3f9e67, v19
	v_mul_f32_e32 v29, 0xbf3f9e67, v10
	v_add_f32_e32 v21, v21, v31
	v_fmamk_f32 v31, v11, 0x3f29c268, v29
	v_fma_f32 v19, v9, s5, -v19
	v_fmac_f32_e32 v29, 0xbf29c268, v11
	v_add_f32_e32 v19, v19, v22
	v_add_f32_e32 v22, v29, v32
	v_mul_f32_e32 v29, 0x3f52af12, v12
	v_add_f32_e32 v31, v31, v34
	v_fmamk_f32 v32, v9, 0x3f116cb1, v29
	v_mul_f32_e32 v34, 0x3f116cb1, v10
	v_add_f32_e32 v32, v32, v35
	v_fmamk_f32 v35, v11, 0xbf52af12, v34
	v_fma_f32 v29, v9, s13, -v29
	v_fmac_f32_e32 v34, 0x3f52af12, v11
	v_add_f32_e32 v8, v58, v8
	v_add_f32_e32 v29, v29, v33
	;; [unrolled: 1-line block ×3, first 2 shown]
	v_mul_f32_e32 v38, 0xbeb58ec6, v10
	v_add_f32_e32 v8, v54, v8
	v_add_f32_e32 v47, v47, v51
	v_add_f32_e32 v35, v35, v42
	v_mul_f32_e32 v34, 0xbf6f5d39, v12
	v_fmamk_f32 v42, v11, 0x3f6f5d39, v38
	v_mul_f32_e32 v10, 0x3df6dbef, v10
	v_add_f32_e32 v57, v57, v59
	v_add_f32_e32 v52, v52, v56
	;; [unrolled: 1-line block ×4, first 2 shown]
	v_fmamk_f32 v36, v9, 0xbeb58ec6, v34
	v_add_f32_e32 v40, v42, v40
	v_fmamk_f32 v42, v11, 0xbf7e222b, v10
	v_fmac_f32_e32 v10, 0x3f7e222b, v11
	v_add_f32_e32 v53, v53, v57
	v_add_f32_e32 v48, v48, v52
	;; [unrolled: 1-line block ×4, first 2 shown]
	v_mul_f32_e32 v12, 0x3f7e222b, v12
	v_add_f32_e32 v43, v10, v6
	v_mov_b32_e32 v6, 2
	v_add_f32_e32 v49, v49, v53
	v_add_f32_e32 v44, v44, v48
	v_fma_f32 v34, v9, s11, -v34
	v_fmac_f32_e32 v38, 0xbf6f5d39, v11
	v_add_f32_e32 v42, v42, v8
	v_fma_f32 v8, v9, s21, -v12
	v_lshlrev_b32_sdwa v1, v6, v1 dst_sel:DWORD dst_unused:UNUSED_PAD src0_sel:DWORD src1_sel:BYTE_0
	v_add_f32_e32 v45, v45, v49
	v_add_f32_e32 v34, v34, v41
	;; [unrolled: 1-line block ×3, first 2 shown]
	v_fmamk_f32 v41, v9, 0x3df6dbef, v12
	v_add_f32_e32 v7, v8, v7
	v_add3_u32 v44, 0, v0, v1
	v_add_f32_e32 v41, v41, v45
	s_barrier
	ds_write2_b32 v44, v37, v17 offset1:13
	ds_write2_b32 v44, v16, v21 offset0:26 offset1:39
	ds_write2_b32 v44, v32, v36 offset0:52 offset1:65
	;; [unrolled: 1-line block ×5, first 2 shown]
	ds_write_b32 v44, v13 offset:624
	s_waitcnt lgkmcnt(0)
	s_barrier
	ds_read2_b32 v[0:1], v24 offset1:169
	ds_read2_b32 v[10:11], v14 offset0:82 offset1:251
	ds_read2_b32 v[14:15], v25 offset0:36 offset1:205
	;; [unrolled: 1-line block ×5, first 2 shown]
	ds_read_b32 v16, v24 offset:8112
	s_waitcnt lgkmcnt(0)
	s_barrier
	ds_write2_b32 v44, v39, v23 offset1:13
	ds_write2_b32 v44, v28, v31 offset0:26 offset1:39
	ds_write2_b32 v44, v35, v40 offset0:52 offset1:65
	;; [unrolled: 1-line block ×5, first 2 shown]
	ds_write_b32 v44, v20 offset:624
	s_waitcnt lgkmcnt(0)
	s_barrier
	s_and_saveexec_b64 s[44:45], vcc
	s_cbranch_execz .LBB0_15
; %bb.14:
	v_mul_u32_u24_e32 v17, 12, v67
	v_lshlrev_b32_e32 v17, 3, v17
	global_load_dwordx4 v[18:21], v17, s[8:9] offset:1248
	global_load_dwordx4 v[22:25], v17, s[8:9] offset:1264
	;; [unrolled: 1-line block ×6, first 2 shown]
	v_mul_i32_i24_e32 v17, 0xffffffd0, v67
	v_mov_b32_e32 v46, v9
	v_add_u32_e32 v9, v68, v17
	v_mul_lo_u32 v45, s43, v4
	v_mul_lo_u32 v47, s42, v5
	v_mad_u64_u32 v[4:5], s[8:9], s42, v4, 0
	v_mad_u64_u32 v[42:43], s[8:9], s16, v66, 0
	v_mov_b32_e32 v44, v13
	ds_read_b32 v54, v9 offset:8112
	ds_read2_b32 v[50:51], v9 offset1:169
	v_add_u32_e32 v13, 0x1a00, v9
	v_add3_u32 v5, v5, v47, v45
	v_mov_b32_e32 v52, v43
	v_add_u32_e32 v17, 0x400, v9
	v_add_u32_e32 v43, 0x1400, v9
	v_add_u32_e32 v45, 0xa00, v9
	v_add_u32_e32 v9, 0xf00, v9
	ds_read2_b32 v[56:57], v13 offset0:26 offset1:195
	ds_read2_b32 v[58:59], v17 offset0:82 offset1:251
	;; [unrolled: 1-line block ×5, first 2 shown]
	v_mad_u64_u32 v[52:53], s[8:9], s17, v66, v[52:53]
	v_lshl_add_u64 v[4:5], v[4:5], 3, s[6:7]
	v_mov_b32_e32 v43, v52
	v_lshl_add_u64 v[52:53], v[2:3], 3, v[4:5]
	v_lshl_add_u64 v[2:3], v[42:43], 3, v[52:53]
	s_waitcnt lgkmcnt(4)
	v_mov_b32_e32 v4, v57
	s_waitcnt lgkmcnt(2)
	v_mov_b32_e32 v42, v61
	;; [unrolled: 2-line block ×3, first 2 shown]
	v_mov_b32_e32 v48, v15
	s_mov_b32 s40, s3
	s_mov_b32 s2, s41
	s_mov_b32 s8, s14
	s_mov_b32 s9, s5
	s_mov_b32 s19, s21
	s_mov_b32 s38, s11
	s_mov_b32 s24, s1
	s_mov_b32 s23, s13
	s_waitcnt vmcnt(5)
	v_mul_f32_e32 v9, v1, v19
	v_mul_f32_e32 v70, v51, v19
	;; [unrolled: 1-line block ×4, first 2 shown]
	s_waitcnt vmcnt(4)
	v_mul_f32_e32 v17, v11, v23
	v_mul_f32_e32 v74, v59, v23
	s_waitcnt vmcnt(3)
	v_pk_mul_f32 v[4:5], v[4:5], v[26:27] op_sel_hi:[0,1]
	v_mov_b32_e32 v76, v25
	v_mov_b32_e32 v77, v24
	v_pk_mul_f32 v[14:15], v[14:15], v[24:25] op_sel_hi:[0,1]
	s_waitcnt vmcnt(2)
	v_pk_mul_f32 v[24:25], v[42:43], v[30:31] op_sel_hi:[0,1]
	s_waitcnt vmcnt(1)
	v_pk_mul_f32 v[42:43], v[68:69], v[34:35] op_sel_hi:[0,1]
	v_fma_f32 v68, v51, v18, -v9
	v_fmac_f32_e32 v70, v1, v18
	v_pk_mul_f32 v[54:55], v[54:55], v[28:29] op_sel_hi:[0,1]
	v_pk_mul_f32 v[56:57], v[56:57], v[32:33] op_sel_hi:[0,1]
	v_fma_f32 v73, v58, v20, -v13
	v_fmac_f32_e32 v72, v10, v20
	v_fma_f32 v75, v59, v22, -v17
	v_fmac_f32_e32 v74, v11, v22
	v_pk_fma_f32 v[22:23], v[44:45], v[26:27], v[4:5] op_sel:[0,0,1] op_sel_hi:[0,1,0]
	v_pk_fma_f32 v[26:27], v[44:45], v[26:27], v[4:5] op_sel:[0,0,1] op_sel_hi:[0,1,0] neg_lo:[1,0,0] neg_hi:[1,0,0]
	v_pk_fma_f32 v[78:79], v[48:49], v[34:35], v[42:43] op_sel:[0,0,1] op_sel_hi:[0,1,0]
	v_add_f32_e32 v5, v50, v68
	v_add_f32_e32 v4, v0, v70
	v_pk_fma_f32 v[80:81], v[48:49], v[34:35], v[42:43] op_sel:[0,0,1] op_sel_hi:[0,1,0] neg_lo:[1,0,0] neg_hi:[1,0,0]
	s_waitcnt vmcnt(0)
	v_pk_mul_f32 v[34:35], v[60:61], v[40:41] op_sel_hi:[0,1]
	v_pk_fma_f32 v[20:21], v[16:17], v[28:29], v[54:55] op_sel:[0,0,1] op_sel_hi:[0,1,0]
	v_pk_fma_f32 v[18:19], v[16:17], v[28:29], v[54:55] op_sel:[0,0,1] op_sel_hi:[0,1,0] neg_lo:[1,0,0] neg_hi:[1,0,0]
	v_pk_fma_f32 v[28:29], v[12:13], v[32:33], v[56:57] op_sel:[0,0,1] op_sel_hi:[0,1,0]
	v_pk_fma_f32 v[44:45], v[12:13], v[32:33], v[56:57] op_sel:[0,0,1] op_sel_hi:[0,1,0] neg_lo:[1,0,0] neg_hi:[1,0,0]
	v_pk_fma_f32 v[54:55], v[62:63], v[76:77], v[14:15] op_sel_hi:[0,1,1]
	v_pk_fma_f32 v[56:57], v[62:63], v[76:77], v[14:15] op_sel_hi:[0,1,1] neg_lo:[0,0,1] neg_hi:[0,0,1]
	v_pk_fma_f32 v[60:61], v[8:9], v[40:41], v[34:35] op_sel:[0,0,1] op_sel_hi:[0,1,0]
	v_pk_fma_f32 v[82:83], v[8:9], v[40:41], v[34:35] op_sel:[0,0,1] op_sel_hi:[0,1,0] neg_lo:[1,0,0] neg_hi:[1,0,0]
	s_waitcnt lgkmcnt(0)
	v_pk_mul_f32 v[34:35], v[64:65], v[36:37] op_sel_hi:[0,1]
	v_pk_add_f32 v[4:5], v[4:5], v[72:73]
	v_mov_b32_e32 v16, v54
	v_mov_b32_e32 v17, v57
	v_pk_fma_f32 v[84:85], v[6:7], v[36:37], v[34:35] op_sel:[0,0,1] op_sel_hi:[0,1,0]
	v_pk_fma_f32 v[86:87], v[6:7], v[36:37], v[34:35] op_sel:[0,0,1] op_sel_hi:[0,1,0] neg_lo:[1,0,0] neg_hi:[1,0,0]
	v_mov_b32_e32 v6, v65
	v_pk_add_f32 v[4:5], v[4:5], v[74:75]
	v_mov_b32_e32 v32, v78
	v_mov_b32_e32 v33, v81
	v_pk_mul_f32 v[36:37], v[6:7], v[38:39] op_sel_hi:[0,1]
	v_mov_b32_e32 v6, v7
	v_pk_add_f32 v[4:5], v[4:5], v[16:17]
	v_mov_b32_e32 v34, v84
	v_mov_b32_e32 v35, v87
	v_pk_fma_f32 v[64:65], v[6:7], v[38:39], v[36:37] op_sel:[0,0,1] op_sel_hi:[0,1,0]
	v_pk_fma_f32 v[88:89], v[6:7], v[38:39], v[36:37] op_sel:[0,0,1] op_sel_hi:[0,1,0] neg_lo:[1,0,0] neg_hi:[1,0,0]
	v_pk_add_f32 v[4:5], v[4:5], v[32:33]
	v_mov_b32_e32 v6, v64
	v_mov_b32_e32 v7, v89
	v_pk_add_f32 v[4:5], v[4:5], v[34:35]
	v_pk_fma_f32 v[76:77], v[46:47], v[30:31], v[24:25] op_sel:[0,0,1] op_sel_hi:[0,1,0]
	v_pk_fma_f32 v[24:25], v[46:47], v[30:31], v[24:25] op_sel:[0,0,1] op_sel_hi:[0,1,0] neg_lo:[1,0,0] neg_hi:[1,0,0]
	v_mov_b32_e32 v8, v60
	v_mov_b32_e32 v9, v83
	v_pk_add_f32 v[4:5], v[6:7], v[4:5]
	v_mov_b32_e32 v30, v76
	v_mov_b32_e32 v31, v25
	v_pk_add_f32 v[4:5], v[8:9], v[4:5]
	;; [unrolled: 3-line block ×5, first 2 shown]
	v_add_u32_e32 v1, 0xa9, v66
	v_pk_add_f32 v[4:5], v[10:11], v[4:5]
	global_store_dwordx2 v[2:3], v[4:5], off
	v_mad_u64_u32 v[2:3], s[6:7], s16, v1, 0
	v_mov_b32_e32 v4, v3
	v_mad_u64_u32 v[4:5], s[6:7], s17, v1, v[4:5]
	v_mov_b32_e32 v3, v4
	v_add_u32_e32 v1, 0x152, v66
	v_lshl_add_u64 v[90:91], v[2:3], 3, v[52:53]
	v_mad_u64_u32 v[2:3], s[6:7], s16, v1, 0
	v_mov_b32_e32 v4, v3
	v_mad_u64_u32 v[4:5], s[6:7], s17, v1, v[4:5]
	v_mov_b32_e32 v3, v4
	v_add_u32_e32 v1, 0x1fb, v66
	v_lshl_add_u64 v[62:63], v[2:3], 3, v[52:53]
	v_mad_u64_u32 v[2:3], s[6:7], s16, v1, 0
	v_mov_b32_e32 v4, v3
	v_mad_u64_u32 v[4:5], s[6:7], s17, v1, v[4:5]
	v_mov_b32_e32 v3, v4
	v_add_u32_e32 v1, 0x2a4, v66
	v_lshl_add_u64 v[58:59], v[2:3], 3, v[52:53]
	v_mad_u64_u32 v[2:3], s[6:7], s16, v1, 0
	v_mov_b32_e32 v4, v3
	v_mad_u64_u32 v[4:5], s[6:7], s17, v1, v[4:5]
	v_mov_b32_e32 v3, v4
	v_add_u32_e32 v1, 0x34d, v66
	v_lshl_add_u64 v[34:35], v[2:3], 3, v[52:53]
	v_mad_u64_u32 v[2:3], s[6:7], s16, v1, 0
	v_mov_b32_e32 v4, v3
	v_mad_u64_u32 v[4:5], s[6:7], s17, v1, v[4:5]
	v_mov_b32_e32 v3, v4
	v_add_u32_e32 v1, 0x3f6, v66
	v_lshl_add_u64 v[16:17], v[2:3], 3, v[52:53]
	v_mad_u64_u32 v[2:3], s[6:7], s16, v1, 0
	v_mov_b32_e32 v4, v3
	v_mad_u64_u32 v[4:5], s[6:7], s17, v1, v[4:5]
	v_add_u32_e32 v1, 0x49f, v66
	v_mov_b32_e32 v3, v4
	v_mad_u64_u32 v[4:5], s[6:7], s16, v1, 0
	v_mov_b32_e32 v6, v5
	v_mad_u64_u32 v[6:7], s[6:7], s17, v1, v[6:7]
	v_add_u32_e32 v1, 0x548, v66
	v_mov_b32_e32 v5, v6
	;; [unrolled: 5-line block ×6, first 2 shown]
	v_mad_u64_u32 v[14:15], s[6:7], s16, v1, 0
	v_pk_add_f32 v[38:39], v[70:71], v[20:21]
	v_pk_add_f32 v[20:21], v[70:71], v[20:21] neg_lo:[0,1] neg_hi:[0,1]
	v_mov_b32_e32 v30, v15
	v_mov_b32_e32 v39, v20
	;; [unrolled: 1-line block ×4, first 2 shown]
	v_pk_add_f32 v[46:47], v[72:73], v[22:23]
	v_pk_add_f32 v[22:23], v[72:73], v[22:23] neg_lo:[0,1] neg_hi:[0,1]
	v_mad_u64_u32 v[30:31], s[6:7], s17, v1, v[30:31]
	v_pk_add_f32 v[32:33], v[20:21], v[26:27] op_sel:[0,1] neg_lo:[0,1] neg_hi:[0,1]
	v_pk_add_f32 v[20:21], v[36:37], v[26:27] op_sel_hi:[0,1]
	v_mov_b32_e32 v47, v22
	v_mov_b32_e32 v22, v75
	;; [unrolled: 1-line block ×4, first 2 shown]
	v_pk_add_f32 v[36:37], v[22:23], v[44:45] op_sel:[0,1] neg_lo:[0,1] neg_hi:[0,1]
	v_pk_add_f32 v[22:23], v[26:27], v[44:45] op_sel_hi:[0,1]
	v_pk_add_f32 v[48:49], v[74:75], v[28:29]
	v_pk_add_f32 v[26:27], v[74:75], v[28:29] neg_lo:[0,1] neg_hi:[0,1]
	v_lshl_add_u64 v[2:3], v[2:3], 3, v[52:53]
	v_lshl_add_u64 v[4:5], v[4:5], 3, v[52:53]
	;; [unrolled: 1-line block ×7, first 2 shown]
	v_pk_add_f32 v[30:31], v[68:69], v[18:19] op_sel:[0,1] neg_lo:[0,1] neg_hi:[0,1]
	v_pk_add_f32 v[18:19], v[68:69], v[18:19] op_sel_hi:[0,1]
	v_mov_b32_e32 v49, v26
	v_pk_add_f32 v[40:41], v[56:57], v[24:25] neg_lo:[0,1] neg_hi:[0,1]
	v_pk_add_f32 v[24:25], v[56:57], v[24:25]
	v_pk_add_f32 v[52:53], v[54:55], v[76:77]
	v_pk_add_f32 v[26:27], v[54:55], v[76:77] neg_lo:[0,1] neg_hi:[0,1]
	v_pk_add_f32 v[54:55], v[78:79], v[60:61]
	v_pk_add_f32 v[28:29], v[78:79], v[60:61] neg_lo:[0,1] neg_hi:[0,1]
	;; [unrolled: 2-line block ×3, first 2 shown]
	v_mov_b32_e32 v18, v30
	v_mov_b32_e32 v57, v60
	v_pk_mul_f32 v[60:61], v[38:39], s[40:41]
	v_mov_b32_e32 v20, v32
	v_pk_fma_f32 v[74:75], v[30:31], s[2:3], v[60:61] neg_lo:[1,0,0] neg_hi:[1,0,0]
	v_pk_fma_f32 v[76:77], v[18:19], s[2:3], v[60:61]
	v_pk_mul_f32 v[64:65], v[46:47], s[34:35]
	v_mov_b32_e32 v75, v77
	v_mov_b32_e32 v1, v50
	v_pk_add_f32 v[50:51], v[0:1], v[74:75]
	v_pk_fma_f32 v[74:75], v[32:33], s[12:13], v[64:65] neg_lo:[1,0,0] neg_hi:[1,0,0]
	v_pk_fma_f32 v[78:79], v[20:21], s[12:13], v[64:65]
	v_mov_b32_e32 v22, v36
	v_pk_mul_f32 v[66:67], v[48:49], s[36:37]
	v_mov_b32_e32 v75, v79
	v_mov_b32_e32 v53, v26
	v_pk_add_f32 v[42:43], v[80:81], v[82:83] neg_lo:[0,1] neg_hi:[0,1]
	v_pk_add_f32 v[26:27], v[80:81], v[82:83]
	v_pk_add_f32 v[50:51], v[50:51], v[74:75]
	v_pk_fma_f32 v[74:75], v[36:37], s[20:21], v[66:67] neg_lo:[1,0,0] neg_hi:[1,0,0]
	v_pk_fma_f32 v[80:81], v[22:23], s[20:21], v[66:67]
	v_mov_b32_e32 v24, v41
	v_pk_mul_f32 v[68:69], v[52:53], s[26:27]
	v_mov_b32_e32 v75, v81
	v_pk_fma_f32 v[60:61], v[18:19], s[2:3], v[60:61] neg_lo:[0,0,1] neg_hi:[0,0,1]
	v_mov_b32_e32 v55, v28
	v_pk_add_f32 v[50:51], v[50:51], v[74:75]
	v_pk_fma_f32 v[74:75], v[40:41], s[10:11], v[68:69] op_sel:[1,0,0] neg_lo:[1,0,0] neg_hi:[1,0,0]
	v_pk_fma_f32 v[82:83], v[24:25], s[10:11], v[68:69]
	v_mov_b32_e32 v77, v61
	v_pk_fma_f32 v[64:65], v[20:21], s[12:13], v[64:65] neg_lo:[0,0,1] neg_hi:[0,0,1]
	v_mov_b32_e32 v26, v43
	v_pk_mul_f32 v[70:71], v[54:55], s[28:29]
	v_mov_b32_e32 v75, v83
	v_pk_add_f32 v[60:61], v[0:1], v[76:77]
	v_mov_b32_e32 v79, v65
	v_pk_fma_f32 v[64:65], v[22:23], s[20:21], v[66:67] neg_lo:[0,0,1] neg_hi:[0,0,1]
	v_pk_add_f32 v[44:45], v[86:87], v[88:89] neg_lo:[0,1] neg_hi:[0,1]
	v_pk_add_f32 v[28:29], v[86:87], v[88:89]
	v_pk_add_f32 v[50:51], v[50:51], v[74:75]
	v_pk_fma_f32 v[74:75], v[42:43], s[4:5], v[70:71] op_sel:[1,0,0] neg_lo:[1,0,0] neg_hi:[1,0,0]
	v_pk_fma_f32 v[84:85], v[26:27], s[4:5], v[70:71]
	v_pk_add_f32 v[60:61], v[60:61], v[78:79]
	v_mov_b32_e32 v81, v65
	v_pk_fma_f32 v[64:65], v[24:25], s[10:11], v[68:69] neg_lo:[0,0,1] neg_hi:[0,0,1]
	v_mov_b32_e32 v28, v45
	v_pk_mul_f32 v[72:73], v[56:57], s[30:31]
	v_mov_b32_e32 v75, v85
	v_pk_add_f32 v[60:61], v[60:61], v[80:81]
	v_mov_b32_e32 v83, v65
	v_pk_fma_f32 v[64:65], v[26:27], s[4:5], v[70:71] neg_lo:[0,0,1] neg_hi:[0,0,1]
	v_pk_add_f32 v[50:51], v[50:51], v[74:75]
	v_pk_fma_f32 v[74:75], v[44:45], s[0:1], v[72:73] op_sel:[1,0,0] neg_lo:[1,0,0] neg_hi:[1,0,0]
	v_pk_fma_f32 v[86:87], v[28:29], s[0:1], v[72:73]
	v_pk_add_f32 v[60:61], v[60:61], v[82:83]
	v_mov_b32_e32 v85, v65
	v_pk_fma_f32 v[64:65], v[28:29], s[0:1], v[72:73] neg_lo:[0,0,1] neg_hi:[0,0,1]
	v_mov_b32_e32 v75, v87
	v_pk_add_f32 v[60:61], v[60:61], v[84:85]
	v_mov_b32_e32 v87, v65
	v_pk_add_f32 v[60:61], v[60:61], v[86:87]
	v_pk_mul_f32 v[64:65], v[38:39], s[34:35]
	global_store_dwordx2 v[90:91], v[60:61], off
	v_pk_mul_f32 v[66:67], v[46:47], s[26:27]
	v_pk_fma_f32 v[60:61], v[30:31], s[12:13], v[64:65] neg_lo:[1,0,0] neg_hi:[1,0,0]
	v_pk_fma_f32 v[76:77], v[18:19], s[12:13], v[64:65]
	v_pk_fma_f32 v[78:79], v[32:33], s[10:11], v[66:67] neg_lo:[1,0,0] neg_hi:[1,0,0]
	v_mov_b32_e32 v61, v77
	v_pk_fma_f32 v[80:81], v[20:21], s[10:11], v[66:67]
	v_pk_mul_f32 v[68:69], v[48:49], s[30:31]
	v_pk_add_f32 v[60:61], v[0:1], v[60:61]
	v_mov_b32_e32 v79, v81
	s_mov_b32 s16, s5
	s_mov_b32 s17, s14
	v_pk_add_f32 v[60:61], v[60:61], v[78:79]
	v_pk_fma_f32 v[78:79], v[36:37], s[0:1], v[68:69] neg_lo:[1,0,0] neg_hi:[1,0,0]
	v_pk_fma_f32 v[82:83], v[22:23], s[0:1], v[68:69]
	v_pk_mul_f32 v[70:71], v[52:53], s[16:17]
	v_mov_b32_e32 v79, v83
	v_pk_fma_f32 v[64:65], v[18:19], s[12:13], v[64:65] neg_lo:[0,0,1] neg_hi:[0,0,1]
	s_mov_b32 s6, s21
	s_mov_b32 s7, s18
	v_pk_add_f32 v[60:61], v[60:61], v[78:79]
	v_pk_fma_f32 v[78:79], v[40:41], s[8:9], v[70:71] op_sel:[1,0,0] neg_lo:[1,0,0] neg_hi:[1,0,0]
	v_pk_fma_f32 v[84:85], v[24:25], s[8:9], v[70:71]
	v_mov_b32_e32 v77, v65
	v_pk_fma_f32 v[66:67], v[20:21], s[10:11], v[66:67] neg_lo:[0,0,1] neg_hi:[0,0,1]
	v_pk_mul_f32 v[72:73], v[54:55], s[6:7]
	v_mov_b32_e32 v79, v85
	v_pk_add_f32 v[64:65], v[0:1], v[76:77]
	v_mov_b32_e32 v81, v67
	v_pk_fma_f32 v[66:67], v[22:23], s[0:1], v[68:69] neg_lo:[0,0,1] neg_hi:[0,0,1]
	s_mov_b32 s14, s3
	v_pk_add_f32 v[60:61], v[60:61], v[78:79]
	v_pk_fma_f32 v[78:79], v[42:43], s[18:19], v[72:73] op_sel:[1,0,0] neg_lo:[1,0,0] neg_hi:[1,0,0]
	v_pk_fma_f32 v[86:87], v[26:27], s[18:19], v[72:73]
	v_pk_add_f32 v[64:65], v[64:65], v[80:81]
	v_mov_b32_e32 v83, v67
	v_pk_fma_f32 v[66:67], v[24:25], s[8:9], v[70:71] neg_lo:[0,0,1] neg_hi:[0,0,1]
	v_pk_add_f32 v[50:51], v[50:51], v[74:75]
	v_pk_mul_f32 v[74:75], v[56:57], s[14:15]
	s_mov_b32 s2, s15
	v_mov_b32_e32 v79, v87
	v_pk_add_f32 v[64:65], v[64:65], v[82:83]
	v_mov_b32_e32 v85, v67
	v_pk_fma_f32 v[66:67], v[26:27], s[18:19], v[72:73] neg_lo:[0,0,1] neg_hi:[0,0,1]
	v_pk_add_f32 v[60:61], v[60:61], v[78:79]
	v_pk_fma_f32 v[78:79], v[44:45], s[2:3], v[74:75] op_sel:[1,0,0] neg_lo:[1,0,0] neg_hi:[1,0,0]
	v_pk_fma_f32 v[88:89], v[28:29], s[2:3], v[74:75]
	v_pk_add_f32 v[64:65], v[64:65], v[84:85]
	v_mov_b32_e32 v87, v67
	v_pk_fma_f32 v[66:67], v[28:29], s[2:3], v[74:75] neg_lo:[0,0,1] neg_hi:[0,0,1]
	v_mov_b32_e32 v79, v89
	v_pk_add_f32 v[64:65], v[64:65], v[86:87]
	v_mov_b32_e32 v89, v67
	v_pk_add_f32 v[64:65], v[64:65], v[88:89]
	global_store_dwordx2 v[62:63], v[64:65], off
	v_pk_mul_f32 v[62:63], v[38:39], s[36:37]
	v_pk_mul_f32 v[64:65], v[46:47], s[30:31]
	v_pk_fma_f32 v[74:75], v[30:31], s[20:21], v[62:63] neg_lo:[1,0,0] neg_hi:[1,0,0]
	v_pk_fma_f32 v[76:77], v[18:19], s[20:21], v[62:63]
	v_pk_add_f32 v[60:61], v[60:61], v[78:79]
	v_mov_b32_e32 v75, v77
	v_pk_fma_f32 v[78:79], v[32:33], s[0:1], v[64:65] neg_lo:[1,0,0] neg_hi:[1,0,0]
	v_pk_fma_f32 v[80:81], v[20:21], s[0:1], v[64:65]
	v_pk_mul_f32 v[66:67], v[48:49], s[38:39]
	s_mov_b32 s38, s39
	s_mov_b32 s39, s11
	v_pk_add_f32 v[74:75], v[0:1], v[74:75]
	v_mov_b32_e32 v79, v81
	v_pk_add_f32 v[74:75], v[74:75], v[78:79]
	v_pk_fma_f32 v[78:79], v[36:37], s[38:39], v[66:67] neg_lo:[1,0,0] neg_hi:[1,0,0]
	v_pk_fma_f32 v[82:83], v[22:23], s[38:39], v[66:67]
	v_pk_mul_f32 v[68:69], v[52:53], s[14:15]
	v_mov_b32_e32 v79, v83
	v_pk_fma_f32 v[62:63], v[18:19], s[20:21], v[62:63] neg_lo:[0,0,1] neg_hi:[0,0,1]
	v_pk_add_f32 v[74:75], v[74:75], v[78:79]
	v_pk_fma_f32 v[78:79], v[40:41], s[2:3], v[68:69] op_sel:[1,0,0] neg_lo:[1,0,0] neg_hi:[1,0,0]
	v_pk_fma_f32 v[84:85], v[24:25], s[2:3], v[68:69]
	v_mov_b32_e32 v77, v63
	v_pk_fma_f32 v[64:65], v[20:21], s[0:1], v[64:65] neg_lo:[0,0,1] neg_hi:[0,0,1]
	v_pk_mul_f32 v[70:71], v[54:55], s[34:35]
	v_mov_b32_e32 v79, v85
	v_pk_add_f32 v[62:63], v[0:1], v[76:77]
	v_mov_b32_e32 v81, v65
	v_pk_fma_f32 v[64:65], v[22:23], s[38:39], v[66:67] neg_lo:[0,0,1] neg_hi:[0,0,1]
	v_pk_add_f32 v[74:75], v[74:75], v[78:79]
	v_pk_fma_f32 v[78:79], v[42:43], s[12:13], v[70:71] op_sel:[1,0,0] neg_lo:[1,0,0] neg_hi:[1,0,0]
	v_pk_fma_f32 v[86:87], v[26:27], s[12:13], v[70:71]
	v_pk_add_f32 v[62:63], v[62:63], v[80:81]
	v_mov_b32_e32 v83, v65
	v_pk_fma_f32 v[64:65], v[24:25], s[2:3], v[68:69] neg_lo:[0,0,1] neg_hi:[0,0,1]
	v_pk_mul_f32 v[72:73], v[56:57], s[28:29]
	v_mov_b32_e32 v79, v87
	v_pk_add_f32 v[62:63], v[62:63], v[82:83]
	v_mov_b32_e32 v85, v65
	v_pk_fma_f32 v[64:65], v[26:27], s[12:13], v[70:71] neg_lo:[0,0,1] neg_hi:[0,0,1]
	v_pk_add_f32 v[74:75], v[74:75], v[78:79]
	v_pk_fma_f32 v[78:79], v[44:45], s[4:5], v[72:73] op_sel:[1,0,0] neg_lo:[1,0,0] neg_hi:[1,0,0]
	v_pk_fma_f32 v[88:89], v[28:29], s[4:5], v[72:73]
	v_pk_add_f32 v[62:63], v[62:63], v[84:85]
	v_mov_b32_e32 v87, v65
	v_pk_fma_f32 v[64:65], v[28:29], s[4:5], v[72:73] neg_lo:[0,0,1] neg_hi:[0,0,1]
	v_mov_b32_e32 v79, v89
	v_pk_add_f32 v[62:63], v[62:63], v[86:87]
	v_mov_b32_e32 v89, v65
	v_pk_add_f32 v[62:63], v[62:63], v[88:89]
	global_store_dwordx2 v[58:59], v[62:63], off
	v_pk_mul_f32 v[58:59], v[38:39], s[26:27]
	v_pk_mul_f32 v[62:63], v[46:47], s[16:17]
	v_pk_fma_f32 v[72:73], v[30:31], s[10:11], v[58:59] neg_lo:[1,0,0] neg_hi:[1,0,0]
	v_pk_fma_f32 v[76:77], v[18:19], s[10:11], v[58:59]
	v_pk_add_f32 v[74:75], v[74:75], v[78:79]
	v_mov_b32_e32 v73, v77
	v_pk_fma_f32 v[78:79], v[32:33], s[8:9], v[62:63] neg_lo:[1,0,0] neg_hi:[1,0,0]
	v_pk_fma_f32 v[80:81], v[20:21], s[8:9], v[62:63]
	v_pk_mul_f32 v[64:65], v[48:49], s[14:15]
	v_pk_add_f32 v[72:73], v[0:1], v[72:73]
	v_mov_b32_e32 v79, v81
	v_pk_add_f32 v[72:73], v[72:73], v[78:79]
	v_pk_fma_f32 v[78:79], v[36:37], s[2:3], v[64:65] neg_lo:[1,0,0] neg_hi:[1,0,0]
	v_pk_fma_f32 v[82:83], v[22:23], s[2:3], v[64:65]
	v_pk_mul_f32 v[66:67], v[52:53], s[36:37]
	v_mov_b32_e32 v79, v83
	v_pk_fma_f32 v[58:59], v[18:19], s[10:11], v[58:59] neg_lo:[0,0,1] neg_hi:[0,0,1]
	v_pk_add_f32 v[72:73], v[72:73], v[78:79]
	v_pk_fma_f32 v[78:79], v[40:41], s[20:21], v[66:67] op_sel:[1,0,0] neg_lo:[1,0,0] neg_hi:[1,0,0]
	v_pk_fma_f32 v[84:85], v[24:25], s[20:21], v[66:67]
	v_mov_b32_e32 v77, v59
	v_pk_fma_f32 v[62:63], v[20:21], s[8:9], v[62:63] neg_lo:[0,0,1] neg_hi:[0,0,1]
	v_pk_mul_f32 v[68:69], v[54:55], s[24:25]
	s_mov_b32 s36, s25
	s_mov_b32 s37, s1
	v_mov_b32_e32 v79, v85
	v_pk_add_f32 v[58:59], v[0:1], v[76:77]
	v_mov_b32_e32 v81, v63
	v_pk_fma_f32 v[62:63], v[22:23], s[2:3], v[64:65] neg_lo:[0,0,1] neg_hi:[0,0,1]
	s_mov_b32 s16, s13
	s_mov_b32 s17, s22
	v_pk_add_f32 v[72:73], v[72:73], v[78:79]
	v_pk_fma_f32 v[78:79], v[42:43], s[36:37], v[68:69] op_sel:[1,0,0] neg_lo:[1,0,0] neg_hi:[1,0,0]
	v_pk_fma_f32 v[86:87], v[26:27], s[36:37], v[68:69]
	v_pk_add_f32 v[58:59], v[58:59], v[80:81]
	v_mov_b32_e32 v83, v63
	v_pk_fma_f32 v[62:63], v[24:25], s[20:21], v[66:67] neg_lo:[0,0,1] neg_hi:[0,0,1]
	v_pk_mul_f32 v[70:71], v[56:57], s[16:17]
	v_mov_b32_e32 v79, v87
	v_pk_add_f32 v[58:59], v[58:59], v[82:83]
	v_mov_b32_e32 v85, v63
	v_pk_fma_f32 v[62:63], v[26:27], s[36:37], v[68:69] neg_lo:[0,0,1] neg_hi:[0,0,1]
	v_pk_add_f32 v[72:73], v[72:73], v[78:79]
	v_pk_fma_f32 v[78:79], v[44:45], s[22:23], v[70:71] op_sel:[1,0,0] neg_lo:[1,0,0] neg_hi:[1,0,0]
	v_pk_fma_f32 v[88:89], v[28:29], s[22:23], v[70:71]
	v_pk_add_f32 v[58:59], v[58:59], v[84:85]
	v_mov_b32_e32 v87, v63
	v_pk_fma_f32 v[62:63], v[28:29], s[22:23], v[70:71] neg_lo:[0,0,1] neg_hi:[0,0,1]
	v_mov_b32_e32 v79, v89
	v_pk_add_f32 v[58:59], v[58:59], v[86:87]
	v_mov_b32_e32 v89, v63
	v_pk_add_f32 v[58:59], v[58:59], v[88:89]
	global_store_dwordx2 v[34:35], v[58:59], off
	v_pk_mul_f32 v[34:35], v[38:39], s[28:29]
	v_pk_mul_f32 v[58:59], v[46:47], s[6:7]
	v_pk_fma_f32 v[70:71], v[30:31], s[4:5], v[34:35] neg_lo:[1,0,0] neg_hi:[1,0,0]
	v_pk_fma_f32 v[76:77], v[18:19], s[4:5], v[34:35]
	v_pk_add_f32 v[72:73], v[72:73], v[78:79]
	v_mov_b32_e32 v71, v77
	v_pk_fma_f32 v[78:79], v[32:33], s[18:19], v[58:59] neg_lo:[1,0,0] neg_hi:[1,0,0]
	v_pk_fma_f32 v[80:81], v[20:21], s[18:19], v[58:59]
	v_pk_mul_f32 v[62:63], v[48:49], s[34:35]
	v_pk_add_f32 v[70:71], v[0:1], v[70:71]
	v_mov_b32_e32 v79, v81
	v_pk_add_f32 v[70:71], v[70:71], v[78:79]
	v_pk_fma_f32 v[78:79], v[36:37], s[12:13], v[62:63] neg_lo:[1,0,0] neg_hi:[1,0,0]
	v_pk_fma_f32 v[82:83], v[22:23], s[12:13], v[62:63]
	v_pk_mul_f32 v[64:65], v[52:53], s[24:25]
	v_mov_b32_e32 v79, v83
	v_pk_fma_f32 v[34:35], v[18:19], s[4:5], v[34:35] neg_lo:[0,0,1] neg_hi:[0,0,1]
	v_pk_add_f32 v[70:71], v[70:71], v[78:79]
	v_pk_fma_f32 v[78:79], v[40:41], s[36:37], v[64:65] op_sel:[1,0,0] neg_lo:[1,0,0] neg_hi:[1,0,0]
	v_pk_fma_f32 v[84:85], v[24:25], s[36:37], v[64:65]
	v_mov_b32_e32 v77, v35
	v_pk_fma_f32 v[58:59], v[20:21], s[18:19], v[58:59] neg_lo:[0,0,1] neg_hi:[0,0,1]
	v_pk_mul_f32 v[66:67], v[54:55], s[14:15]
	v_mov_b32_e32 v79, v85
	v_pk_add_f32 v[34:35], v[0:1], v[76:77]
	v_mov_b32_e32 v81, v59
	v_pk_fma_f32 v[58:59], v[22:23], s[12:13], v[62:63] neg_lo:[0,0,1] neg_hi:[0,0,1]
	v_pk_add_f32 v[70:71], v[70:71], v[78:79]
	v_pk_fma_f32 v[78:79], v[42:43], s[2:3], v[66:67] op_sel:[1,0,0] neg_lo:[1,0,0] neg_hi:[1,0,0]
	v_pk_fma_f32 v[86:87], v[26:27], s[2:3], v[66:67]
	v_pk_add_f32 v[34:35], v[34:35], v[80:81]
	v_mov_b32_e32 v83, v59
	v_pk_fma_f32 v[58:59], v[24:25], s[36:37], v[64:65] neg_lo:[0,0,1] neg_hi:[0,0,1]
	v_pk_mul_f32 v[68:69], v[56:57], s[26:27]
	v_mov_b32_e32 v79, v87
	v_pk_add_f32 v[34:35], v[34:35], v[82:83]
	v_mov_b32_e32 v85, v59
	v_pk_fma_f32 v[58:59], v[26:27], s[2:3], v[66:67] neg_lo:[0,0,1] neg_hi:[0,0,1]
	v_pk_add_f32 v[70:71], v[70:71], v[78:79]
	v_pk_fma_f32 v[78:79], v[44:45], s[10:11], v[68:69] op_sel:[1,0,0] neg_lo:[1,0,0] neg_hi:[1,0,0]
	v_pk_fma_f32 v[88:89], v[28:29], s[10:11], v[68:69]
	v_pk_add_f32 v[34:35], v[34:35], v[84:85]
	v_mov_b32_e32 v87, v59
	v_pk_fma_f32 v[58:59], v[28:29], s[10:11], v[68:69] neg_lo:[0,0,1] neg_hi:[0,0,1]
	v_mov_b32_e32 v79, v89
	v_pk_add_f32 v[34:35], v[34:35], v[86:87]
	v_mov_b32_e32 v89, v59
	v_pk_add_f32 v[34:35], v[34:35], v[88:89]
	global_store_dwordx2 v[16:17], v[34:35], off
	v_pk_mul_f32 v[16:17], v[38:39], s[30:31]
	v_pk_mul_f32 v[34:35], v[46:47], s[14:15]
	;; [unrolled: 1-line block ×4, first 2 shown]
	v_pk_fma_f32 v[30:31], v[30:31], s[0:1], v[16:17] neg_lo:[1,0,0] neg_hi:[1,0,0]
	v_pk_fma_f32 v[54:55], v[18:19], s[0:1], v[16:17]
	v_pk_mul_f32 v[46:47], v[52:53], s[16:17]
	v_pk_mul_f32 v[52:53], v[56:57], s[6:7]
	v_mov_b32_e32 v31, v55
	v_pk_fma_f32 v[32:33], v[32:33], s[2:3], v[34:35] neg_lo:[1,0,0] neg_hi:[1,0,0]
	v_pk_fma_f32 v[56:57], v[20:21], s[2:3], v[34:35]
	v_pk_add_f32 v[30:31], v[0:1], v[30:31]
	v_mov_b32_e32 v33, v57
	v_pk_add_f32 v[30:31], v[30:31], v[32:33]
	v_pk_fma_f32 v[32:33], v[36:37], s[4:5], v[38:39] neg_lo:[1,0,0] neg_hi:[1,0,0]
	v_pk_fma_f32 v[36:37], v[22:23], s[4:5], v[38:39]
	v_pk_fma_f32 v[16:17], v[18:19], s[0:1], v[16:17] neg_lo:[0,0,1] neg_hi:[0,0,1]
	v_mov_b32_e32 v33, v37
	v_pk_add_f32 v[30:31], v[30:31], v[32:33]
	v_pk_fma_f32 v[32:33], v[40:41], s[22:23], v[46:47] op_sel:[1,0,0] neg_lo:[1,0,0] neg_hi:[1,0,0]
	v_pk_fma_f32 v[40:41], v[24:25], s[22:23], v[46:47]
	v_mov_b32_e32 v55, v17
	v_pk_fma_f32 v[16:17], v[20:21], s[2:3], v[34:35] neg_lo:[0,0,1] neg_hi:[0,0,1]
	v_mov_b32_e32 v33, v41
	v_pk_add_f32 v[0:1], v[0:1], v[54:55]
	v_mov_b32_e32 v57, v17
	v_pk_fma_f32 v[16:17], v[22:23], s[4:5], v[38:39] neg_lo:[0,0,1] neg_hi:[0,0,1]
	v_pk_add_f32 v[30:31], v[30:31], v[32:33]
	v_pk_fma_f32 v[32:33], v[42:43], s[10:11], v[48:49] op_sel:[1,0,0] neg_lo:[1,0,0] neg_hi:[1,0,0]
	v_pk_fma_f32 v[42:43], v[26:27], s[10:11], v[48:49]
	v_pk_add_f32 v[0:1], v[0:1], v[56:57]
	v_mov_b32_e32 v37, v17
	v_pk_fma_f32 v[16:17], v[24:25], s[22:23], v[46:47] neg_lo:[0,0,1] neg_hi:[0,0,1]
	v_mov_b32_e32 v33, v43
	v_pk_add_f32 v[0:1], v[0:1], v[36:37]
	v_mov_b32_e32 v41, v17
	v_pk_fma_f32 v[16:17], v[26:27], s[10:11], v[48:49] neg_lo:[0,0,1] neg_hi:[0,0,1]
	v_pk_add_f32 v[30:31], v[30:31], v[32:33]
	v_pk_fma_f32 v[32:33], v[44:45], s[18:19], v[52:53] op_sel:[1,0,0] neg_lo:[1,0,0] neg_hi:[1,0,0]
	v_pk_fma_f32 v[44:45], v[28:29], s[18:19], v[52:53]
	v_pk_add_f32 v[0:1], v[0:1], v[40:41]
	v_mov_b32_e32 v43, v17
	v_pk_fma_f32 v[16:17], v[28:29], s[18:19], v[52:53] neg_lo:[0,0,1] neg_hi:[0,0,1]
	v_mov_b32_e32 v33, v45
	v_pk_add_f32 v[0:1], v[0:1], v[42:43]
	v_mov_b32_e32 v45, v17
	v_pk_add_f32 v[0:1], v[0:1], v[44:45]
	v_pk_add_f32 v[70:71], v[70:71], v[78:79]
	;; [unrolled: 1-line block ×3, first 2 shown]
	global_store_dwordx2 v[2:3], v[0:1], off
	global_store_dwordx2 v[4:5], v[30:31], off
	;; [unrolled: 1-line block ×7, first 2 shown]
.LBB0_15:
	s_endpgm
	.section	.rodata,"a",@progbits
	.p2align	6, 0x0
	.amdhsa_kernel fft_rtc_back_len2197_factors_13_13_13_wgs_169_tpt_169_halfLds_sp_op_CI_CI_sbrr_dirReg
		.amdhsa_group_segment_fixed_size 0
		.amdhsa_private_segment_fixed_size 0
		.amdhsa_kernarg_size 104
		.amdhsa_user_sgpr_count 2
		.amdhsa_user_sgpr_dispatch_ptr 0
		.amdhsa_user_sgpr_queue_ptr 0
		.amdhsa_user_sgpr_kernarg_segment_ptr 1
		.amdhsa_user_sgpr_dispatch_id 0
		.amdhsa_user_sgpr_kernarg_preload_length 0
		.amdhsa_user_sgpr_kernarg_preload_offset 0
		.amdhsa_user_sgpr_private_segment_size 0
		.amdhsa_uses_dynamic_stack 0
		.amdhsa_enable_private_segment 0
		.amdhsa_system_sgpr_workgroup_id_x 1
		.amdhsa_system_sgpr_workgroup_id_y 0
		.amdhsa_system_sgpr_workgroup_id_z 0
		.amdhsa_system_sgpr_workgroup_info 0
		.amdhsa_system_vgpr_workitem_id 0
		.amdhsa_next_free_vgpr 128
		.amdhsa_next_free_sgpr 80
		.amdhsa_accum_offset 128
		.amdhsa_reserve_vcc 1
		.amdhsa_float_round_mode_32 0
		.amdhsa_float_round_mode_16_64 0
		.amdhsa_float_denorm_mode_32 3
		.amdhsa_float_denorm_mode_16_64 3
		.amdhsa_dx10_clamp 1
		.amdhsa_ieee_mode 1
		.amdhsa_fp16_overflow 0
		.amdhsa_tg_split 0
		.amdhsa_exception_fp_ieee_invalid_op 0
		.amdhsa_exception_fp_denorm_src 0
		.amdhsa_exception_fp_ieee_div_zero 0
		.amdhsa_exception_fp_ieee_overflow 0
		.amdhsa_exception_fp_ieee_underflow 0
		.amdhsa_exception_fp_ieee_inexact 0
		.amdhsa_exception_int_div_zero 0
	.end_amdhsa_kernel
	.text
.Lfunc_end0:
	.size	fft_rtc_back_len2197_factors_13_13_13_wgs_169_tpt_169_halfLds_sp_op_CI_CI_sbrr_dirReg, .Lfunc_end0-fft_rtc_back_len2197_factors_13_13_13_wgs_169_tpt_169_halfLds_sp_op_CI_CI_sbrr_dirReg
                                        ; -- End function
	.section	.AMDGPU.csdata,"",@progbits
; Kernel info:
; codeLenInByte = 11796
; NumSgprs: 86
; NumVgprs: 128
; NumAgprs: 0
; TotalNumVgprs: 128
; ScratchSize: 0
; MemoryBound: 0
; FloatMode: 240
; IeeeMode: 1
; LDSByteSize: 0 bytes/workgroup (compile time only)
; SGPRBlocks: 10
; VGPRBlocks: 15
; NumSGPRsForWavesPerEU: 86
; NumVGPRsForWavesPerEU: 128
; AccumOffset: 128
; Occupancy: 4
; WaveLimiterHint : 1
; COMPUTE_PGM_RSRC2:SCRATCH_EN: 0
; COMPUTE_PGM_RSRC2:USER_SGPR: 2
; COMPUTE_PGM_RSRC2:TRAP_HANDLER: 0
; COMPUTE_PGM_RSRC2:TGID_X_EN: 1
; COMPUTE_PGM_RSRC2:TGID_Y_EN: 0
; COMPUTE_PGM_RSRC2:TGID_Z_EN: 0
; COMPUTE_PGM_RSRC2:TIDIG_COMP_CNT: 0
; COMPUTE_PGM_RSRC3_GFX90A:ACCUM_OFFSET: 31
; COMPUTE_PGM_RSRC3_GFX90A:TG_SPLIT: 0
	.text
	.p2alignl 6, 3212836864
	.fill 256, 4, 3212836864
	.type	__hip_cuid_8506a3f73ea3f3f9,@object ; @__hip_cuid_8506a3f73ea3f3f9
	.section	.bss,"aw",@nobits
	.globl	__hip_cuid_8506a3f73ea3f3f9
__hip_cuid_8506a3f73ea3f3f9:
	.byte	0                               ; 0x0
	.size	__hip_cuid_8506a3f73ea3f3f9, 1

	.ident	"AMD clang version 19.0.0git (https://github.com/RadeonOpenCompute/llvm-project roc-6.4.0 25133 c7fe45cf4b819c5991fe208aaa96edf142730f1d)"
	.section	".note.GNU-stack","",@progbits
	.addrsig
	.addrsig_sym __hip_cuid_8506a3f73ea3f3f9
	.amdgpu_metadata
---
amdhsa.kernels:
  - .agpr_count:     0
    .args:
      - .actual_access:  read_only
        .address_space:  global
        .offset:         0
        .size:           8
        .value_kind:     global_buffer
      - .offset:         8
        .size:           8
        .value_kind:     by_value
      - .actual_access:  read_only
        .address_space:  global
        .offset:         16
        .size:           8
        .value_kind:     global_buffer
      - .actual_access:  read_only
        .address_space:  global
        .offset:         24
        .size:           8
        .value_kind:     global_buffer
      - .actual_access:  read_only
        .address_space:  global
        .offset:         32
        .size:           8
        .value_kind:     global_buffer
      - .offset:         40
        .size:           8
        .value_kind:     by_value
      - .actual_access:  read_only
        .address_space:  global
        .offset:         48
        .size:           8
        .value_kind:     global_buffer
      - .actual_access:  read_only
        .address_space:  global
        .offset:         56
        .size:           8
        .value_kind:     global_buffer
      - .offset:         64
        .size:           4
        .value_kind:     by_value
      - .actual_access:  read_only
        .address_space:  global
        .offset:         72
        .size:           8
        .value_kind:     global_buffer
      - .actual_access:  read_only
        .address_space:  global
        .offset:         80
        .size:           8
        .value_kind:     global_buffer
      - .actual_access:  read_only
        .address_space:  global
        .offset:         88
        .size:           8
        .value_kind:     global_buffer
      - .actual_access:  write_only
        .address_space:  global
        .offset:         96
        .size:           8
        .value_kind:     global_buffer
    .group_segment_fixed_size: 0
    .kernarg_segment_align: 8
    .kernarg_segment_size: 104
    .language:       OpenCL C
    .language_version:
      - 2
      - 0
    .max_flat_workgroup_size: 169
    .name:           fft_rtc_back_len2197_factors_13_13_13_wgs_169_tpt_169_halfLds_sp_op_CI_CI_sbrr_dirReg
    .private_segment_fixed_size: 0
    .sgpr_count:     86
    .sgpr_spill_count: 0
    .symbol:         fft_rtc_back_len2197_factors_13_13_13_wgs_169_tpt_169_halfLds_sp_op_CI_CI_sbrr_dirReg.kd
    .uniform_work_group_size: 1
    .uses_dynamic_stack: false
    .vgpr_count:     128
    .vgpr_spill_count: 0
    .wavefront_size: 64
amdhsa.target:   amdgcn-amd-amdhsa--gfx950
amdhsa.version:
  - 1
  - 2
...

	.end_amdgpu_metadata
